;; amdgpu-corpus repo=ROCm/composable_kernel kind=compiled arch=gfx1100 opt=O3
	.text
	.amdgcn_target "amdgcn-amd-amdhsa--gfx1100"
	.amdhsa_code_object_version 6
	.section	.text._ZN2ckL12flush_icacheEv,"axG",@progbits,_ZN2ckL12flush_icacheEv,comdat
	.globl	_ZN2ckL12flush_icacheEv         ; -- Begin function _ZN2ckL12flush_icacheEv
	.p2align	8
	.type	_ZN2ckL12flush_icacheEv,@function
_ZN2ckL12flush_icacheEv:                ; @_ZN2ckL12flush_icacheEv
; %bb.0:
	;;#ASMSTART
	s_icache_inv 
	s_nop 0 
	s_nop 0 
	;; [unrolled: 1-line block ×16, first 2 shown]
	
	;;#ASMEND
	s_endpgm
	.section	.rodata,"a",@progbits
	.p2align	6, 0x0
	.amdhsa_kernel _ZN2ckL12flush_icacheEv
		.amdhsa_group_segment_fixed_size 0
		.amdhsa_private_segment_fixed_size 0
		.amdhsa_kernarg_size 0
		.amdhsa_user_sgpr_count 15
		.amdhsa_user_sgpr_dispatch_ptr 0
		.amdhsa_user_sgpr_queue_ptr 0
		.amdhsa_user_sgpr_kernarg_segment_ptr 0
		.amdhsa_user_sgpr_dispatch_id 0
		.amdhsa_user_sgpr_private_segment_size 0
		.amdhsa_wavefront_size32 1
		.amdhsa_uses_dynamic_stack 0
		.amdhsa_enable_private_segment 0
		.amdhsa_system_sgpr_workgroup_id_x 1
		.amdhsa_system_sgpr_workgroup_id_y 0
		.amdhsa_system_sgpr_workgroup_id_z 0
		.amdhsa_system_sgpr_workgroup_info 0
		.amdhsa_system_vgpr_workitem_id 0
		.amdhsa_next_free_vgpr 1
		.amdhsa_next_free_sgpr 1
		.amdhsa_reserve_vcc 0
		.amdhsa_float_round_mode_32 0
		.amdhsa_float_round_mode_16_64 0
		.amdhsa_float_denorm_mode_32 3
		.amdhsa_float_denorm_mode_16_64 3
		.amdhsa_dx10_clamp 1
		.amdhsa_ieee_mode 1
		.amdhsa_fp16_overflow 0
		.amdhsa_workgroup_processor_mode 1
		.amdhsa_memory_ordered 1
		.amdhsa_forward_progress 0
		.amdhsa_shared_vgpr_count 0
		.amdhsa_exception_fp_ieee_invalid_op 0
		.amdhsa_exception_fp_denorm_src 0
		.amdhsa_exception_fp_ieee_div_zero 0
		.amdhsa_exception_fp_ieee_overflow 0
		.amdhsa_exception_fp_ieee_underflow 0
		.amdhsa_exception_fp_ieee_inexact 0
		.amdhsa_exception_int_div_zero 0
	.end_amdhsa_kernel
	.section	.text._ZN2ckL12flush_icacheEv,"axG",@progbits,_ZN2ckL12flush_icacheEv,comdat
.Lfunc_end0:
	.size	_ZN2ckL12flush_icacheEv, .Lfunc_end0-_ZN2ckL12flush_icacheEv
                                        ; -- End function
	.section	.AMDGPU.csdata,"",@progbits
; Kernel info:
; codeLenInByte = 344
; NumSgprs: 0
; NumVgprs: 0
; ScratchSize: 0
; MemoryBound: 0
; FloatMode: 240
; IeeeMode: 1
; LDSByteSize: 0 bytes/workgroup (compile time only)
; SGPRBlocks: 0
; VGPRBlocks: 0
; NumSGPRsForWavesPerEU: 1
; NumVGPRsForWavesPerEU: 1
; Occupancy: 16
; WaveLimiterHint : 0
; COMPUTE_PGM_RSRC2:SCRATCH_EN: 0
; COMPUTE_PGM_RSRC2:USER_SGPR: 15
; COMPUTE_PGM_RSRC2:TRAP_HANDLER: 0
; COMPUTE_PGM_RSRC2:TGID_X_EN: 1
; COMPUTE_PGM_RSRC2:TGID_Y_EN: 0
; COMPUTE_PGM_RSRC2:TGID_Z_EN: 0
; COMPUTE_PGM_RSRC2:TIDIG_COMP_CNT: 0
	.section	.text._ZN2ck36kernel_gemm_mupltipe_d_wmma_cshuffleINS_26GridwiseGemmMultipleD_WmmaIaaiiNS_5TupleIJaEEEaNS_16TensorDescriptorINS2_IJNS_5EmbedINS2_IJiiEEENS2_IJiNS_17integral_constantIiLi1EEEEEELb0EEENS_11PassThroughIiEESC_NS_7UnMergeINS2_IJiNS7_IiLi8EEEEEELb0EEESC_EEENS2_IJNS_8SequenceIJLi0EEEENSI_IJLi1EEEENSI_IJLi2EEEENSI_IJLi4EEEENSI_IJLi3EEEEEEENS2_IJNSI_IJLi1ELi2EEEESN_SM_NSI_IJLi5ELi6EEEENSI_IJLi7EEEEEEENSI_IJLi5ELi7ELi6EEEElEESU_NS2_IJNS4_INS2_IJSA_SC_SC_EEENS2_IJSJ_SK_SL_EEENS2_IJSP_SN_SM_EEENSI_IJLi3ELi4EEEElEEEEESZ_NS_16tensor_operation12element_wise11PassThroughES13_12AlphaBetaAddLNS_25InMemoryDataOperationEnumE0ELi128ELi64ELi64ELi16ELi16ELi8ELi4ELi2ELi128ENSI_IJLi4ELi32ELi1EEEENSI_IJLi1ELi0ELi2EEEES17_Li2ELi8ELi8ELb0ELb1ELb1ES16_S17_S17_Li2ELi8ELi8ELb0ELb1ELb1ELi1ELi1ENSI_IJLi1ELi32ELi1ELi4EEEELi8ELi2ELNS_13LoopSchedulerE0ELNS_15PipelineVersionE0EEEaaNS2_IJPKaEEEaSU_SU_NS2_IJNS4_INS2_IJSA_SC_SC_NSD_INS2_IJiNS7_IiLi128EEEEEELb0EEENSD_INS2_IJiNS7_IiLi64EEEEEELb0EEEEEENS2_IJSJ_SK_SL_SN_SM_EEENS2_IJSP_SN_SM_SQ_NSI_IJLi7ELi8EEEEEEENSI_IJLi5ELi6ELi7ELi8EEEElEEEEES1Q_S13_S13_S14_NS_31BlockToCTileMap_M00_N0_M01AdaptILi128ELi64ESZ_iEELb1EEEvPKT0_PKT1_T2_PT3_T4_T5_T6_T7_T8_T9_T10_T11_,"axG",@progbits,_ZN2ck36kernel_gemm_mupltipe_d_wmma_cshuffleINS_26GridwiseGemmMultipleD_WmmaIaaiiNS_5TupleIJaEEEaNS_16TensorDescriptorINS2_IJNS_5EmbedINS2_IJiiEEENS2_IJiNS_17integral_constantIiLi1EEEEEELb0EEENS_11PassThroughIiEESC_NS_7UnMergeINS2_IJiNS7_IiLi8EEEEEELb0EEESC_EEENS2_IJNS_8SequenceIJLi0EEEENSI_IJLi1EEEENSI_IJLi2EEEENSI_IJLi4EEEENSI_IJLi3EEEEEEENS2_IJNSI_IJLi1ELi2EEEESN_SM_NSI_IJLi5ELi6EEEENSI_IJLi7EEEEEEENSI_IJLi5ELi7ELi6EEEElEESU_NS2_IJNS4_INS2_IJSA_SC_SC_EEENS2_IJSJ_SK_SL_EEENS2_IJSP_SN_SM_EEENSI_IJLi3ELi4EEEElEEEEESZ_NS_16tensor_operation12element_wise11PassThroughES13_12AlphaBetaAddLNS_25InMemoryDataOperationEnumE0ELi128ELi64ELi64ELi16ELi16ELi8ELi4ELi2ELi128ENSI_IJLi4ELi32ELi1EEEENSI_IJLi1ELi0ELi2EEEES17_Li2ELi8ELi8ELb0ELb1ELb1ES16_S17_S17_Li2ELi8ELi8ELb0ELb1ELb1ELi1ELi1ENSI_IJLi1ELi32ELi1ELi4EEEELi8ELi2ELNS_13LoopSchedulerE0ELNS_15PipelineVersionE0EEEaaNS2_IJPKaEEEaSU_SU_NS2_IJNS4_INS2_IJSA_SC_SC_NSD_INS2_IJiNS7_IiLi128EEEEEELb0EEENSD_INS2_IJiNS7_IiLi64EEEEEELb0EEEEEENS2_IJSJ_SK_SL_SN_SM_EEENS2_IJSP_SN_SM_SQ_NSI_IJLi7ELi8EEEEEEENSI_IJLi5ELi6ELi7ELi8EEEElEEEEES1Q_S13_S13_S14_NS_31BlockToCTileMap_M00_N0_M01AdaptILi128ELi64ESZ_iEELb1EEEvPKT0_PKT1_T2_PT3_T4_T5_T6_T7_T8_T9_T10_T11_,comdat
	.protected	_ZN2ck36kernel_gemm_mupltipe_d_wmma_cshuffleINS_26GridwiseGemmMultipleD_WmmaIaaiiNS_5TupleIJaEEEaNS_16TensorDescriptorINS2_IJNS_5EmbedINS2_IJiiEEENS2_IJiNS_17integral_constantIiLi1EEEEEELb0EEENS_11PassThroughIiEESC_NS_7UnMergeINS2_IJiNS7_IiLi8EEEEEELb0EEESC_EEENS2_IJNS_8SequenceIJLi0EEEENSI_IJLi1EEEENSI_IJLi2EEEENSI_IJLi4EEEENSI_IJLi3EEEEEEENS2_IJNSI_IJLi1ELi2EEEESN_SM_NSI_IJLi5ELi6EEEENSI_IJLi7EEEEEEENSI_IJLi5ELi7ELi6EEEElEESU_NS2_IJNS4_INS2_IJSA_SC_SC_EEENS2_IJSJ_SK_SL_EEENS2_IJSP_SN_SM_EEENSI_IJLi3ELi4EEEElEEEEESZ_NS_16tensor_operation12element_wise11PassThroughES13_12AlphaBetaAddLNS_25InMemoryDataOperationEnumE0ELi128ELi64ELi64ELi16ELi16ELi8ELi4ELi2ELi128ENSI_IJLi4ELi32ELi1EEEENSI_IJLi1ELi0ELi2EEEES17_Li2ELi8ELi8ELb0ELb1ELb1ES16_S17_S17_Li2ELi8ELi8ELb0ELb1ELb1ELi1ELi1ENSI_IJLi1ELi32ELi1ELi4EEEELi8ELi2ELNS_13LoopSchedulerE0ELNS_15PipelineVersionE0EEEaaNS2_IJPKaEEEaSU_SU_NS2_IJNS4_INS2_IJSA_SC_SC_NSD_INS2_IJiNS7_IiLi128EEEEEELb0EEENSD_INS2_IJiNS7_IiLi64EEEEEELb0EEEEEENS2_IJSJ_SK_SL_SN_SM_EEENS2_IJSP_SN_SM_SQ_NSI_IJLi7ELi8EEEEEEENSI_IJLi5ELi6ELi7ELi8EEEElEEEEES1Q_S13_S13_S14_NS_31BlockToCTileMap_M00_N0_M01AdaptILi128ELi64ESZ_iEELb1EEEvPKT0_PKT1_T2_PT3_T4_T5_T6_T7_T8_T9_T10_T11_ ; -- Begin function _ZN2ck36kernel_gemm_mupltipe_d_wmma_cshuffleINS_26GridwiseGemmMultipleD_WmmaIaaiiNS_5TupleIJaEEEaNS_16TensorDescriptorINS2_IJNS_5EmbedINS2_IJiiEEENS2_IJiNS_17integral_constantIiLi1EEEEEELb0EEENS_11PassThroughIiEESC_NS_7UnMergeINS2_IJiNS7_IiLi8EEEEEELb0EEESC_EEENS2_IJNS_8SequenceIJLi0EEEENSI_IJLi1EEEENSI_IJLi2EEEENSI_IJLi4EEEENSI_IJLi3EEEEEEENS2_IJNSI_IJLi1ELi2EEEESN_SM_NSI_IJLi5ELi6EEEENSI_IJLi7EEEEEEENSI_IJLi5ELi7ELi6EEEElEESU_NS2_IJNS4_INS2_IJSA_SC_SC_EEENS2_IJSJ_SK_SL_EEENS2_IJSP_SN_SM_EEENSI_IJLi3ELi4EEEElEEEEESZ_NS_16tensor_operation12element_wise11PassThroughES13_12AlphaBetaAddLNS_25InMemoryDataOperationEnumE0ELi128ELi64ELi64ELi16ELi16ELi8ELi4ELi2ELi128ENSI_IJLi4ELi32ELi1EEEENSI_IJLi1ELi0ELi2EEEES17_Li2ELi8ELi8ELb0ELb1ELb1ES16_S17_S17_Li2ELi8ELi8ELb0ELb1ELb1ELi1ELi1ENSI_IJLi1ELi32ELi1ELi4EEEELi8ELi2ELNS_13LoopSchedulerE0ELNS_15PipelineVersionE0EEEaaNS2_IJPKaEEEaSU_SU_NS2_IJNS4_INS2_IJSA_SC_SC_NSD_INS2_IJiNS7_IiLi128EEEEEELb0EEENSD_INS2_IJiNS7_IiLi64EEEEEELb0EEEEEENS2_IJSJ_SK_SL_SN_SM_EEENS2_IJSP_SN_SM_SQ_NSI_IJLi7ELi8EEEEEEENSI_IJLi5ELi6ELi7ELi8EEEElEEEEES1Q_S13_S13_S14_NS_31BlockToCTileMap_M00_N0_M01AdaptILi128ELi64ESZ_iEELb1EEEvPKT0_PKT1_T2_PT3_T4_T5_T6_T7_T8_T9_T10_T11_
	.globl	_ZN2ck36kernel_gemm_mupltipe_d_wmma_cshuffleINS_26GridwiseGemmMultipleD_WmmaIaaiiNS_5TupleIJaEEEaNS_16TensorDescriptorINS2_IJNS_5EmbedINS2_IJiiEEENS2_IJiNS_17integral_constantIiLi1EEEEEELb0EEENS_11PassThroughIiEESC_NS_7UnMergeINS2_IJiNS7_IiLi8EEEEEELb0EEESC_EEENS2_IJNS_8SequenceIJLi0EEEENSI_IJLi1EEEENSI_IJLi2EEEENSI_IJLi4EEEENSI_IJLi3EEEEEEENS2_IJNSI_IJLi1ELi2EEEESN_SM_NSI_IJLi5ELi6EEEENSI_IJLi7EEEEEEENSI_IJLi5ELi7ELi6EEEElEESU_NS2_IJNS4_INS2_IJSA_SC_SC_EEENS2_IJSJ_SK_SL_EEENS2_IJSP_SN_SM_EEENSI_IJLi3ELi4EEEElEEEEESZ_NS_16tensor_operation12element_wise11PassThroughES13_12AlphaBetaAddLNS_25InMemoryDataOperationEnumE0ELi128ELi64ELi64ELi16ELi16ELi8ELi4ELi2ELi128ENSI_IJLi4ELi32ELi1EEEENSI_IJLi1ELi0ELi2EEEES17_Li2ELi8ELi8ELb0ELb1ELb1ES16_S17_S17_Li2ELi8ELi8ELb0ELb1ELb1ELi1ELi1ENSI_IJLi1ELi32ELi1ELi4EEEELi8ELi2ELNS_13LoopSchedulerE0ELNS_15PipelineVersionE0EEEaaNS2_IJPKaEEEaSU_SU_NS2_IJNS4_INS2_IJSA_SC_SC_NSD_INS2_IJiNS7_IiLi128EEEEEELb0EEENSD_INS2_IJiNS7_IiLi64EEEEEELb0EEEEEENS2_IJSJ_SK_SL_SN_SM_EEENS2_IJSP_SN_SM_SQ_NSI_IJLi7ELi8EEEEEEENSI_IJLi5ELi6ELi7ELi8EEEElEEEEES1Q_S13_S13_S14_NS_31BlockToCTileMap_M00_N0_M01AdaptILi128ELi64ESZ_iEELb1EEEvPKT0_PKT1_T2_PT3_T4_T5_T6_T7_T8_T9_T10_T11_
	.p2align	8
	.type	_ZN2ck36kernel_gemm_mupltipe_d_wmma_cshuffleINS_26GridwiseGemmMultipleD_WmmaIaaiiNS_5TupleIJaEEEaNS_16TensorDescriptorINS2_IJNS_5EmbedINS2_IJiiEEENS2_IJiNS_17integral_constantIiLi1EEEEEELb0EEENS_11PassThroughIiEESC_NS_7UnMergeINS2_IJiNS7_IiLi8EEEEEELb0EEESC_EEENS2_IJNS_8SequenceIJLi0EEEENSI_IJLi1EEEENSI_IJLi2EEEENSI_IJLi4EEEENSI_IJLi3EEEEEEENS2_IJNSI_IJLi1ELi2EEEESN_SM_NSI_IJLi5ELi6EEEENSI_IJLi7EEEEEEENSI_IJLi5ELi7ELi6EEEElEESU_NS2_IJNS4_INS2_IJSA_SC_SC_EEENS2_IJSJ_SK_SL_EEENS2_IJSP_SN_SM_EEENSI_IJLi3ELi4EEEElEEEEESZ_NS_16tensor_operation12element_wise11PassThroughES13_12AlphaBetaAddLNS_25InMemoryDataOperationEnumE0ELi128ELi64ELi64ELi16ELi16ELi8ELi4ELi2ELi128ENSI_IJLi4ELi32ELi1EEEENSI_IJLi1ELi0ELi2EEEES17_Li2ELi8ELi8ELb0ELb1ELb1ES16_S17_S17_Li2ELi8ELi8ELb0ELb1ELb1ELi1ELi1ENSI_IJLi1ELi32ELi1ELi4EEEELi8ELi2ELNS_13LoopSchedulerE0ELNS_15PipelineVersionE0EEEaaNS2_IJPKaEEEaSU_SU_NS2_IJNS4_INS2_IJSA_SC_SC_NSD_INS2_IJiNS7_IiLi128EEEEEELb0EEENSD_INS2_IJiNS7_IiLi64EEEEEELb0EEEEEENS2_IJSJ_SK_SL_SN_SM_EEENS2_IJSP_SN_SM_SQ_NSI_IJLi7ELi8EEEEEEENSI_IJLi5ELi6ELi7ELi8EEEElEEEEES1Q_S13_S13_S14_NS_31BlockToCTileMap_M00_N0_M01AdaptILi128ELi64ESZ_iEELb1EEEvPKT0_PKT1_T2_PT3_T4_T5_T6_T7_T8_T9_T10_T11_,@function
_ZN2ck36kernel_gemm_mupltipe_d_wmma_cshuffleINS_26GridwiseGemmMultipleD_WmmaIaaiiNS_5TupleIJaEEEaNS_16TensorDescriptorINS2_IJNS_5EmbedINS2_IJiiEEENS2_IJiNS_17integral_constantIiLi1EEEEEELb0EEENS_11PassThroughIiEESC_NS_7UnMergeINS2_IJiNS7_IiLi8EEEEEELb0EEESC_EEENS2_IJNS_8SequenceIJLi0EEEENSI_IJLi1EEEENSI_IJLi2EEEENSI_IJLi4EEEENSI_IJLi3EEEEEEENS2_IJNSI_IJLi1ELi2EEEESN_SM_NSI_IJLi5ELi6EEEENSI_IJLi7EEEEEEENSI_IJLi5ELi7ELi6EEEElEESU_NS2_IJNS4_INS2_IJSA_SC_SC_EEENS2_IJSJ_SK_SL_EEENS2_IJSP_SN_SM_EEENSI_IJLi3ELi4EEEElEEEEESZ_NS_16tensor_operation12element_wise11PassThroughES13_12AlphaBetaAddLNS_25InMemoryDataOperationEnumE0ELi128ELi64ELi64ELi16ELi16ELi8ELi4ELi2ELi128ENSI_IJLi4ELi32ELi1EEEENSI_IJLi1ELi0ELi2EEEES17_Li2ELi8ELi8ELb0ELb1ELb1ES16_S17_S17_Li2ELi8ELi8ELb0ELb1ELb1ELi1ELi1ENSI_IJLi1ELi32ELi1ELi4EEEELi8ELi2ELNS_13LoopSchedulerE0ELNS_15PipelineVersionE0EEEaaNS2_IJPKaEEEaSU_SU_NS2_IJNS4_INS2_IJSA_SC_SC_NSD_INS2_IJiNS7_IiLi128EEEEEELb0EEENSD_INS2_IJiNS7_IiLi64EEEEEELb0EEEEEENS2_IJSJ_SK_SL_SN_SM_EEENS2_IJSP_SN_SM_SQ_NSI_IJLi7ELi8EEEEEEENSI_IJLi5ELi6ELi7ELi8EEEElEEEEES1Q_S13_S13_S14_NS_31BlockToCTileMap_M00_N0_M01AdaptILi128ELi64ESZ_iEELb1EEEvPKT0_PKT1_T2_PT3_T4_T5_T6_T7_T8_T9_T10_T11_: ; @_ZN2ck36kernel_gemm_mupltipe_d_wmma_cshuffleINS_26GridwiseGemmMultipleD_WmmaIaaiiNS_5TupleIJaEEEaNS_16TensorDescriptorINS2_IJNS_5EmbedINS2_IJiiEEENS2_IJiNS_17integral_constantIiLi1EEEEEELb0EEENS_11PassThroughIiEESC_NS_7UnMergeINS2_IJiNS7_IiLi8EEEEEELb0EEESC_EEENS2_IJNS_8SequenceIJLi0EEEENSI_IJLi1EEEENSI_IJLi2EEEENSI_IJLi4EEEENSI_IJLi3EEEEEEENS2_IJNSI_IJLi1ELi2EEEESN_SM_NSI_IJLi5ELi6EEEENSI_IJLi7EEEEEEENSI_IJLi5ELi7ELi6EEEElEESU_NS2_IJNS4_INS2_IJSA_SC_SC_EEENS2_IJSJ_SK_SL_EEENS2_IJSP_SN_SM_EEENSI_IJLi3ELi4EEEElEEEEESZ_NS_16tensor_operation12element_wise11PassThroughES13_12AlphaBetaAddLNS_25InMemoryDataOperationEnumE0ELi128ELi64ELi64ELi16ELi16ELi8ELi4ELi2ELi128ENSI_IJLi4ELi32ELi1EEEENSI_IJLi1ELi0ELi2EEEES17_Li2ELi8ELi8ELb0ELb1ELb1ES16_S17_S17_Li2ELi8ELi8ELb0ELb1ELb1ELi1ELi1ENSI_IJLi1ELi32ELi1ELi4EEEELi8ELi2ELNS_13LoopSchedulerE0ELNS_15PipelineVersionE0EEEaaNS2_IJPKaEEEaSU_SU_NS2_IJNS4_INS2_IJSA_SC_SC_NSD_INS2_IJiNS7_IiLi128EEEEEELb0EEENSD_INS2_IJiNS7_IiLi64EEEEEELb0EEEEEENS2_IJSJ_SK_SL_SN_SM_EEENS2_IJSP_SN_SM_SQ_NSI_IJLi7ELi8EEEEEEENSI_IJLi5ELi6ELi7ELi8EEEElEEEEES1Q_S13_S13_S14_NS_31BlockToCTileMap_M00_N0_M01AdaptILi128ELi64ESZ_iEELb1EEEvPKT0_PKT1_T2_PT3_T4_T5_T6_T7_T8_T9_T10_T11_
; %bb.0:
	s_clause 0x1
	s_load_b128 s[4:7], s[0:1], 0x114
	s_load_b64 s[10:11], s[0:1], 0x108
	v_dual_mov_b32 v57, 0 :: v_dual_and_b32 v16, 0xfc, v0
	s_waitcnt lgkmcnt(0)
	s_abs_i32 s11, s15
	s_clause 0x1
	s_load_b32 s12, s[0:1], 0x124
	s_load_b32 s25, s[0:1], 0x28
	v_lshrrev_b32_e32 v222, 1, v0
	v_mov_b32_e32 v62, v57
	s_load_b128 s[20:23], s[0:1], 0x0
	v_lshrrev_b32_e32 v223, 6, v0
	v_dual_mov_b32 v33, v57 :: v_dual_lshlrev_b32 v74, 3, v0
	v_and_b32_e32 v69, 0x7e, v222
	v_bfe_u32 v70, v0, 1, 3
	v_dual_mov_b32 v40, v57 :: v_dual_and_b32 v77, 15, v0
	v_mov_b32_e32 v35, v57
	v_dual_mov_b32 v44, v57 :: v_dual_and_b32 v225, 16, v222
	s_add_i32 s2, s6, 0x7f
	s_add_i32 s3, s7, 63
	s_ashr_i32 s6, s2, 31
	s_ashr_i32 s7, s3, 31
	s_lshr_b32 s6, s6, 25
	s_lshr_b32 s7, s7, 26
	s_add_i32 s2, s2, s6
	s_add_i32 s3, s3, s7
	s_ashr_i32 s6, s2, 7
	s_ashr_i32 s3, s3, 6
	v_and_or_b32 v70, v74, 8, v70
	s_mul_i32 s7, s3, s6
	v_dual_mov_b32 v42, v57 :: v_dual_lshlrev_b32 v73, 3, v16
	s_abs_i32 s7, s7
	v_mov_b32_e32 v46, v57
	v_cvt_f32_u32_e32 v1, s7
	s_sub_i32 s9, 0, s7
	v_mov_b32_e32 v11, v57
	v_mov_b32_e32 v12, v57
	;; [unrolled: 1-line block ×3, first 2 shown]
	v_rcp_iflag_f32_e32 v1, v1
	v_mov_b32_e32 v14, v57
	v_mov_b32_e32 v15, v57
	;; [unrolled: 1-line block ×9, first 2 shown]
	v_dual_mul_f32 v1, 0x4f7ffffe, v1 :: v_dual_mov_b32 v56, v57
	v_mov_b32_e32 v52, v57
	v_mov_b32_e32 v54, v57
	;; [unrolled: 1-line block ×3, first 2 shown]
	s_delay_alu instid0(VALU_DEP_4)
	v_cvt_u32_f32_e32 v1, v1
	v_mov_b32_e32 v49, v57
	v_mov_b32_e32 v51, v57
	;; [unrolled: 1-line block ×4, first 2 shown]
	v_readfirstlane_b32 s8, v1
	v_mov_b32_e32 v36, v57
	v_mov_b32_e32 v55, v57
	s_delay_alu instid0(VALU_DEP_3) | instskip(NEXT) | instid1(SALU_CYCLE_1)
	s_mul_i32 s9, s9, s8
	s_mul_hi_u32 s9, s8, s9
	s_delay_alu instid0(SALU_CYCLE_1) | instskip(SKIP_2) | instid1(SALU_CYCLE_1)
	s_add_i32 s8, s8, s9
	s_ashr_i32 s9, s15, 31
	s_mul_hi_u32 s8, s11, s8
	s_mul_i32 s8, s8, s7
	s_delay_alu instid0(SALU_CYCLE_1) | instskip(NEXT) | instid1(SALU_CYCLE_1)
	s_sub_i32 s8, s11, s8
	s_sub_i32 s11, s8, s7
	s_cmp_ge_u32 s8, s7
	s_cselect_b32 s8, s11, s8
	s_delay_alu instid0(SALU_CYCLE_1)
	s_sub_i32 s11, s8, s7
	s_cmp_ge_u32 s8, s7
	s_cselect_b32 s7, s11, s8
	s_abs_i32 s8, s3
	s_xor_b32 s7, s7, s9
	v_cvt_f32_u32_e32 v1, s8
	s_sub_i32 s13, 0, s8
	s_sub_i32 s7, s7, s9
	s_delay_alu instid0(VALU_DEP_1) | instskip(SKIP_2) | instid1(VALU_DEP_1)
	v_rcp_iflag_f32_e32 v1, v1
	s_waitcnt_depctr 0xfff
	v_mul_f32_e32 v1, 0x4f7ffffe, v1
	v_cvt_u32_f32_e32 v1, v1
	s_delay_alu instid0(VALU_DEP_1) | instskip(NEXT) | instid1(VALU_DEP_1)
	v_readfirstlane_b32 s11, v1
	s_mul_i32 s13, s13, s11
	s_delay_alu instid0(SALU_CYCLE_1) | instskip(SKIP_2) | instid1(SALU_CYCLE_1)
	s_mul_hi_u32 s9, s11, s13
	s_abs_i32 s13, s7
	s_add_i32 s11, s11, s9
	s_mul_hi_u32 s9, s13, s11
	s_xor_b32 s11, s7, s3
	s_mul_i32 s14, s9, s8
	s_ashr_i32 s11, s11, 31
	s_sub_i32 s13, s13, s14
	s_add_i32 s14, s9, 1
	s_sub_i32 s15, s13, s8
	s_cmp_ge_u32 s13, s8
	s_cselect_b32 s9, s14, s9
	s_cselect_b32 s13, s15, s13
	s_add_i32 s14, s9, 1
	s_cmp_ge_u32 s13, s8
	s_cselect_b32 s8, s14, s9
	s_waitcnt lgkmcnt(0)
	s_abs_i32 s9, s12
	s_abs_i32 s15, s6
	v_cvt_f32_u32_e32 v1, s9
	s_sub_i32 s14, 0, s9
	s_xor_b32 s8, s8, s11
	s_ashr_i32 s2, s2, 31
	s_sub_i32 s8, s8, s11
	v_rcp_iflag_f32_e32 v1, v1
	s_waitcnt_depctr 0xfff
	v_mul_f32_e32 v1, 0x4f7ffffe, v1
	s_delay_alu instid0(VALU_DEP_1) | instskip(NEXT) | instid1(VALU_DEP_1)
	v_cvt_u32_f32_e32 v1, v1
	v_readfirstlane_b32 s13, v1
	s_delay_alu instid0(VALU_DEP_1) | instskip(NEXT) | instid1(SALU_CYCLE_1)
	s_mul_i32 s14, s14, s13
	s_mul_hi_u32 s14, s13, s14
	s_delay_alu instid0(SALU_CYCLE_1) | instskip(NEXT) | instid1(SALU_CYCLE_1)
	s_add_i32 s13, s13, s14
	s_mul_hi_u32 s14, s15, s13
	s_delay_alu instid0(SALU_CYCLE_1) | instskip(NEXT) | instid1(SALU_CYCLE_1)
	s_mul_i32 s14, s14, s9
	s_sub_i32 s14, s15, s14
	s_mov_b32 s15, 0x31004000
	s_sub_i32 s11, s14, s9
	s_cmp_ge_u32 s14, s9
	s_mov_b32 s19, s15
	s_cselect_b32 s11, s11, s14
	s_delay_alu instid0(SALU_CYCLE_1) | instskip(SKIP_2) | instid1(SALU_CYCLE_1)
	s_sub_i32 s14, s11, s9
	s_cmp_ge_u32 s11, s9
	s_cselect_b32 s11, s14, s11
	s_xor_b32 s11, s11, s2
	s_delay_alu instid0(SALU_CYCLE_1) | instskip(NEXT) | instid1(SALU_CYCLE_1)
	s_sub_i32 s2, s11, s2
	s_sub_i32 s6, s6, s2
	s_delay_alu instid0(SALU_CYCLE_1)
	s_cmp_lt_i32 s8, s6
	s_cselect_b32 s2, s12, s2
	s_abs_i32 s6, s8
	s_mul_i32 s12, s8, s3
	s_mul_hi_u32 s11, s6, s13
	s_sub_i32 s7, s7, s12
	s_mul_i32 s11, s11, s9
	s_delay_alu instid0(SALU_CYCLE_1) | instskip(SKIP_4) | instid1(SALU_CYCLE_1)
	s_sub_i32 s6, s6, s11
	s_ashr_i32 s11, s8, 31
	s_sub_i32 s12, s6, s9
	s_cmp_ge_u32 s6, s9
	s_cselect_b32 s6, s12, s6
	s_sub_i32 s12, s6, s9
	s_cmp_ge_u32 s6, s9
	s_cselect_b32 s6, s12, s6
	s_abs_i32 s9, s2
	s_xor_b32 s6, s6, s11
	v_cvt_f32_u32_e32 v1, s9
	s_sub_i32 s6, s6, s11
	s_sub_i32 s11, 0, s9
	s_mul_i32 s3, s6, s3
	s_delay_alu instid0(VALU_DEP_1) | instskip(SKIP_3) | instid1(VALU_DEP_1)
	v_rcp_iflag_f32_e32 v1, v1
	s_add_i32 s3, s3, s7
	s_waitcnt_depctr 0xfff
	v_mul_f32_e32 v1, 0x4f7ffffe, v1
	v_cvt_u32_f32_e32 v1, v1
	s_delay_alu instid0(VALU_DEP_1) | instskip(SKIP_1) | instid1(VALU_DEP_2)
	v_readfirstlane_b32 s12, v1
	v_lshlrev_b32_e32 v1, 1, v0
	s_mul_i32 s11, s11, s12
	s_delay_alu instid0(VALU_DEP_1) | instskip(SKIP_3) | instid1(SALU_CYCLE_1)
	v_and_b32_e32 v65, 6, v1
	s_mul_hi_u32 s7, s12, s11
	s_abs_i32 s11, s3
	s_add_i32 s12, s12, s7
	s_mul_hi_u32 s7, s11, s12
	s_xor_b32 s12, s3, s2
	s_mul_i32 s13, s7, s9
	s_ashr_i32 s12, s12, 31
	s_sub_i32 s11, s11, s13
	s_add_i32 s13, s7, 1
	s_sub_i32 s14, s11, s9
	s_cmp_ge_u32 s11, s9
	v_lshlrev_b32_e32 v230, 3, v65
	s_cselect_b32 s7, s13, s7
	s_cselect_b32 s11, s14, s11
	s_add_i32 s13, s7, 1
	s_cmp_ge_u32 s11, s9
	s_clause 0x2
	s_load_b32 s26, s[0:1], 0x38
	s_load_b32 s14, s[0:1], 0x50
	;; [unrolled: 1-line block ×3, first 2 shown]
	s_cselect_b32 s7, s13, s7
	s_sub_i32 s11, s8, s6
	s_xor_b32 s7, s7, s12
	v_mad_u32_u24 v227, 0x408, v65, v73
	s_sub_i32 s9, s7, s12
	s_delay_alu instid0(SALU_CYCLE_1)
	s_mul_i32 s2, s9, s2
	s_lshl_b32 s24, s9, 6
	s_sub_i32 s2, s3, s2
	v_add_nc_u32_e32 v1, s24, v69
	s_add_i32 s11, s11, s2
	s_load_b64 s[8:9], s[0:1], 0x18
	s_lshl_b32 s2, s11, 7
	s_mov_b32 s16, s22
	v_add_nc_u32_e32 v66, s2, v16
	s_clause 0x3
	s_load_b32 s18, s[0:1], 0x88
	s_load_b32 s7, s[0:1], 0x98
	s_load_b64 s[2:3], s[0:1], 0xc8
	s_load_b32 s6, s[0:1], 0xd8
	s_waitcnt lgkmcnt(0)
	s_mul_i32 s3, s25, -3
	s_mov_b32 s17, s23
	s_mov_b32 s12, s20
	v_mul_lo_u32 v229, v66, s25
	v_mul_lo_u32 v231, v1, s27
	s_mov_b32 s13, s21
	v_lshlrev_b32_e32 v69, 3, v69
	v_mov_b32_e32 v37, v57
	v_mov_b32_e32 v48, v57
	v_mov_b32_e32 v39, v57
	v_dual_mov_b32 v20, v57 :: v_dual_add_nc_u32 v235, s25, v229
	v_add_nc_u32_e32 v2, v229, v230
	v_add_nc_u32_e32 v4, v231, v230
	s_clause 0x1
	buffer_load_b128 v[89:92], v4, s[16:19], 0 offen
	buffer_load_b128 v[101:104], v4, s[16:19], 0 offen offset:64
	v_add_nc_u32_e32 v1, s25, v2
	v_add_nc_u32_e32 v6, s27, v4
	v_mad_u32_u24 v226, 0x208, v65, v69
	v_add_nc_u32_e32 v65, 3, v66
	v_add_nc_u32_e32 v66, 2, v66
	;; [unrolled: 1-line block ×6, first 2 shown]
	buffer_load_b128 v[105:108], v2, s[12:15], 0 offen
	s_clause 0x1
	buffer_load_b64 v[79:80], v4, s[16:19], 0 offen
	buffer_load_b64 v[71:72], v8, s[16:19], 0 offen
	buffer_load_b128 v[109:112], v3, s[12:15], 0 offen
	v_add_nc_u32_e32 v5, s25, v3
	v_add_nc_u32_e32 v3, 8, v1
	v_mul_lo_u32 v233, s25, v65
	v_mul_lo_u32 v234, s25, v66
	v_mov_b32_e32 v45, v57
	v_add3_u32 v7, s3, 64, v5
	s_clause 0x1
	buffer_load_b64 v[93:94], v9, s[16:19], 0 offen
	buffer_load_b64 v[95:96], v6, s[16:19], 0 offen
	s_clause 0x1
	buffer_load_b128 v[113:116], v7, s[12:15], 0 offen
	buffer_load_b64 v[87:88], v1, s[12:15], 0 offen
	v_add_nc_u32_e32 v10, s25, v7
	v_add_nc_u32_e32 v1, 8, v5
	buffer_load_b64 v[97:98], v3, s[12:15], 0 offen
	s_ashr_i32 s3, s26, 31
	v_mov_b32_e32 v28, v57
	v_add_nc_u32_e32 v2, s25, v10
	v_add_nc_u32_e32 v3, 8, v10
	s_lshr_b32 s3, s3, 29
	v_mov_b32_e32 v47, v57
	v_mov_b32_e32 v26, v57
	buffer_load_b128 v[117:120], v2, s[12:15], 0 offen
	v_add_nc_u32_e32 v2, s25, v2
	v_mov_b32_e32 v30, v57
	v_mov_b32_e32 v31, v57
	;; [unrolled: 1-line block ×3, first 2 shown]
	s_add_i32 s26, s26, s3
	v_add_nc_u32_e32 v4, 8, v2
	s_clause 0x5
	buffer_load_b64 v[83:84], v5, s[12:15], 0 offen
	buffer_load_b64 v[99:100], v1, s[12:15], 0 offen
	;; [unrolled: 1-line block ×6, first 2 shown]
	scratch_store_b32 off, v74, off         ; 4-byte Folded Spill
	v_dual_mov_b32 v41, v57 :: v_dual_lshlrev_b32 v74, 7, v223
	v_mov_b32_e32 v43, v57
	v_mov_b32_e32 v25, v57
	;; [unrolled: 1-line block ×3, first 2 shown]
	s_delay_alu instid0(VALU_DEP_4)
	v_lshl_or_b32 v221, v70, 3, v74
	v_or_b32_e32 v70, v225, v77
	v_mov_b32_e32 v29, v57
	v_mov_b32_e32 v32, v57
	;; [unrolled: 1-line block ×4, first 2 shown]
	v_lshl_add_u32 v224, v70, 3, 0x2038
	v_dual_mov_b32 v21, v57 :: v_dual_add_nc_u32 v228, 0x2038, v226
	v_mov_b32_e32 v22, v57
	v_dual_mov_b32 v23, v57 :: v_dual_add_nc_u32 v236, 0x800, v221
	v_dual_mov_b32 v24, v57 :: v_dual_add_nc_u32 v239, 0x1800, v221
	;; [unrolled: 1-line block ×3, first 2 shown]
	v_mov_b32_e32 v2, v57
	v_mov_b32_e32 v3, v57
	;; [unrolled: 1-line block ×10, first 2 shown]
	v_add_nc_u32_e32 v232, s27, v231
	v_add_nc_u32_e32 v237, 0x800, v224
	s_ashr_i32 s20, s26, 3
	s_mov_b32 s3, 0
	s_add_i32 s20, s20, -2
	s_waitcnt vmcnt(16)
	v_mov_b32_e32 v77, v103
	v_dual_mov_b32 v69, v101 :: v_dual_mov_b32 v78, v104
	s_waitcnt vmcnt(15)
	v_dual_mov_b32 v70, v102 :: v_dual_mov_b32 v85, v105
	v_dual_mov_b32 v86, v106 :: v_dual_mov_b32 v105, v107
	s_waitcnt vmcnt(12)
	v_dual_mov_b32 v106, v108 :: v_dual_mov_b32 v107, v111
	;; [unrolled: 3-line block ×3, first 2 shown]
	v_mov_b32_e32 v218, v116
	v_dual_mov_b32 v74, v114 :: v_dual_mov_b32 v217, v115
	s_waitcnt vmcnt(6)
	v_dual_mov_b32 v220, v120 :: v_dual_mov_b32 v65, v117
	v_dual_mov_b32 v219, v119 :: v_dual_mov_b32 v66, v118
.LBB1_1:                                ; =>This Inner Loop Header: Depth=1
	v_add_nc_u32_e32 v141, v230, v229
	v_add_nc_u32_e32 v109, v230, v235
	;; [unrolled: 1-line block ×6, first 2 shown]
	ds_store_b128 v227, v[85:88]
	s_waitcnt vmcnt(5)
	ds_store_b128 v227, v[81:84] offset:16
	s_waitcnt vmcnt(4)
	ds_store_2addr_b64 v227, v[107:108], v[99:100] offset0:131 offset1:132
	ds_store_2addr_b64 v227, v[105:106], v[97:98] offset0:129 offset1:130
	ds_store_2addr_b64 v228, v[89:90], v[95:96] offset1:1
	ds_store_b128 v226, v[91:94] offset:8768
	s_clause 0x3
	buffer_load_b128 v[85:88], v141, s[12:15], 0 offen offset:128
	buffer_load_b128 v[97:100], v109, s[12:15], 0 offen offset:128
	;; [unrolled: 1-line block ×4, first 2 shown]
	s_clause 0x1
	buffer_load_b128 v[89:92], v150, s[16:19], 0 offen offset:128
	buffer_load_b128 v[101:104], v149, s[16:19], 0 offen offset:128
	s_waitcnt vmcnt(0) lgkmcnt(0)
	s_waitcnt_vscnt null, 0x0
	s_barrier
	ds_load_2addr_b64 v[244:247], v221 offset1:32
	ds_load_2addr_b64 v[105:108], v221 offset0:129 offset1:161
	ds_load_2addr_b64 v[117:120], v221 offset0:64 offset1:96
	;; [unrolled: 1-line block ×3, first 2 shown]
	ds_load_2addr_b64 v[137:140], v224 offset1:32
	ds_load_2addr_b64 v[121:124], v224 offset0:65 offset1:97
	ds_load_2addr_b64 v[185:188], v236 offset0:2 offset1:34
	;; [unrolled: 1-line block ×19, first 2 shown]
	s_waitcnt lgkmcnt(0)
	s_barrier
	ds_store_b128 v227, v[73:76]
	ds_store_b128 v227, v[65:68] offset:16
	v_mov_b32_e32 v110, v245
	s_clause 0x1
	buffer_load_b128 v[73:76], v141, s[12:15], 0 offen offset:192
	buffer_load_b128 v[141:144], v109, s[12:15], 0 offen offset:192
	ds_store_2addr_b64 v227, v[219:220], v[215:216] offset0:131 offset1:132
	ds_store_2addr_b64 v227, v[217:218], v[213:214] offset0:129 offset1:130
	v_dual_mov_b32 v111, v105 :: v_dual_add_nc_u32 v232, 0x80, v232
	v_dual_mov_b32 v105, v246 :: v_dual_mov_b32 v246, v113
	s_clause 0x1
	buffer_load_b128 v[65:68], v145, s[12:15], 0 offen offset:192
	buffer_load_b128 v[145:148], v146, s[12:15], 0 offen offset:192
	ds_store_2addr_b64 v228, v[69:70], v[71:72] offset1:1
	v_dual_mov_b32 v112, v106 :: v_dual_add_nc_u32 v231, 0x80, v231
	v_dual_mov_b32 v109, v244 :: v_dual_mov_b32 v106, v247
	s_clause 0x1
	buffer_load_b128 v[69:72], v150, s[16:19], 0 offen offset:192
	buffer_load_b128 v[149:152], v149, s[16:19], 0 offen offset:192
	v_add_nc_u32_e32 v233, 0x80, v233
	v_dual_mov_b32 v245, v118 :: v_dual_add_nc_u32 v234, 0x80, v234
	v_dual_mov_b32 v118, v138 :: v_dual_add_nc_u32 v235, 0x80, v235
	;; [unrolled: 1-line block ×3, first 2 shown]
	v_mov_b32_e32 v247, v114
	v_dual_mov_b32 v113, v119 :: v_dual_mov_b32 v114, v120
	v_mov_b32_e32 v117, v137
	v_dual_mov_b32 v119, v121 :: v_dual_mov_b32 v120, v122
	v_dual_mov_b32 v121, v139 :: v_dual_mov_b32 v122, v140
	ds_store_b128 v226, v[77:80] offset:8768
	s_waitcnt vmcnt(0) lgkmcnt(0)
	s_barrier
	ds_load_2addr_b64 v[77:80], v221 offset1:32
	ds_load_2addr_b64 v[213:216], v221 offset0:129 offset1:161
	ds_load_2addr_b64 v[217:220], v221 offset0:64 offset1:96
	;; [unrolled: 1-line block ×3, first 2 shown]
	ds_load_2addr_b64 v[248:251], v224 offset1:32
	ds_load_2addr_b64 v[252:255], v224 offset0:65 offset1:97
	v_wmma_i32_16x16x16_iu8 v[49:56], v[109:112], v[121:124], v[49:56] neg_lo:[1,1,0]
	v_wmma_i32_16x16x16_iu8 v[41:48], v[105:108], v[121:124], v[41:48] neg_lo:[1,1,0]
	;; [unrolled: 1-line block ×4, first 2 shown]
	v_dual_mov_b32 v121, v185 :: v_dual_mov_b32 v122, v186
	v_dual_mov_b32 v123, v153 :: v_dual_mov_b32 v124, v154
	;; [unrolled: 1-line block ×3, first 2 shown]
	v_wmma_i32_16x16x16_iu8 v[57:64], v[109:112], v[117:120], v[57:64] neg_lo:[1,1,0]
	v_wmma_i32_16x16x16_iu8 v[33:40], v[105:108], v[117:120], v[33:40] neg_lo:[1,1,0]
	;; [unrolled: 1-line block ×4, first 2 shown]
	v_dual_mov_b32 v185, v193 :: v_dual_mov_b32 v186, v194
	v_dual_mov_b32 v187, v161 :: v_dual_mov_b32 v188, v162
	;; [unrolled: 1-line block ×6, first 2 shown]
	ds_load_2addr_b64 v[137:140], v236 offset0:2 offset1:34
	ds_load_2addr_b64 v[117:120], v236 offset0:131 offset1:163
	;; [unrolled: 1-line block ×6, first 2 shown]
	v_wmma_i32_16x16x16_iu8 v[49:56], v[121:124], v[169:172], v[49:56] neg_lo:[1,1,0]
	v_wmma_i32_16x16x16_iu8 v[41:48], v[153:156], v[169:172], v[41:48] neg_lo:[1,1,0]
	;; [unrolled: 1-line block ×4, first 2 shown]
	v_dual_mov_b32 v169, v189 :: v_dual_mov_b32 v170, v190
	v_dual_mov_b32 v171, v157 :: v_dual_mov_b32 v172, v158
	;; [unrolled: 1-line block ×3, first 2 shown]
	v_wmma_i32_16x16x16_iu8 v[57:64], v[121:124], v[193:196], v[57:64] neg_lo:[1,1,0]
	v_wmma_i32_16x16x16_iu8 v[33:40], v[153:156], v[193:196], v[33:40] neg_lo:[1,1,0]
	v_wmma_i32_16x16x16_iu8 v[25:32], v[185:188], v[193:196], v[25:32] neg_lo:[1,1,0]
	v_wmma_i32_16x16x16_iu8 v[1:8], v[161:164], v[193:196], v[1:8] neg_lo:[1,1,0]
	v_dual_mov_b32 v189, v201 :: v_dual_mov_b32 v190, v202
	v_dual_mov_b32 v191, v165 :: v_dual_mov_b32 v192, v166
	;; [unrolled: 1-line block ×6, first 2 shown]
	ds_load_2addr_b64 v[205:208], v238 offset0:4 offset1:36
	ds_load_2addr_b64 v[193:196], v238 offset0:133 offset1:165
	;; [unrolled: 1-line block ×7, first 2 shown]
	v_wmma_i32_16x16x16_iu8 v[49:56], v[169:172], v[177:180], v[49:56] neg_lo:[1,1,0]
	v_wmma_i32_16x16x16_iu8 v[41:48], v[157:160], v[177:180], v[41:48] neg_lo:[1,1,0]
	v_wmma_i32_16x16x16_iu8 v[17:24], v[189:192], v[177:180], v[17:24] neg_lo:[1,1,0]
	v_wmma_i32_16x16x16_iu8 v[9:16], v[165:168], v[177:180], v[9:16] neg_lo:[1,1,0]
	v_mov_b32_e32 v178, v198
	v_mov_b32_e32 v198, v182
	;; [unrolled: 1-line block ×4, first 2 shown]
	v_wmma_i32_16x16x16_iu8 v[57:64], v[169:172], v[201:204], v[57:64] neg_lo:[1,1,0]
	v_wmma_i32_16x16x16_iu8 v[33:40], v[157:160], v[201:204], v[33:40] neg_lo:[1,1,0]
	;; [unrolled: 1-line block ×4, first 2 shown]
	ds_load_2addr_b64 v[201:204], v239 offset0:135 offset1:167
	ds_load_2addr_b64 v[169:172], v239 offset0:70 offset1:102
	;; [unrolled: 1-line block ×5, first 2 shown]
	v_dual_mov_b32 v177, v197 :: v_dual_mov_b32 v200, v126
	v_dual_mov_b32 v179, v129 :: v_dual_mov_b32 v126, v184
	;; [unrolled: 1-line block ×5, first 2 shown]
	s_waitcnt lgkmcnt(23)
	v_dual_mov_b32 v125, v183 :: v_dual_mov_b32 v174, v78
	s_waitcnt lgkmcnt(22)
	v_dual_mov_b32 v181, v173 :: v_dual_mov_b32 v176, v214
	v_dual_mov_b32 v183, v133 :: v_dual_mov_b32 v214, v80
	s_waitcnt lgkmcnt(21)
	v_dual_mov_b32 v133, v175 :: v_dual_mov_b32 v78, v218
	v_mov_b32_e32 v173, v77
	v_mov_b32_e32 v175, v213
	s_waitcnt lgkmcnt(20)
	v_dual_mov_b32 v213, v79 :: v_dual_mov_b32 v80, v241
	v_mov_b32_e32 v77, v217
	s_waitcnt lgkmcnt(19)
	v_dual_mov_b32 v79, v240 :: v_dual_mov_b32 v218, v249
	v_dual_mov_b32 v240, v219 :: v_dual_mov_b32 v241, v220
	s_waitcnt lgkmcnt(18)
	v_dual_mov_b32 v220, v253 :: v_dual_mov_b32 v217, v248
	s_waitcnt lgkmcnt(17)
	v_dual_mov_b32 v248, v137 :: v_dual_mov_b32 v219, v252
	v_mov_b32_e32 v252, v250
	s_waitcnt lgkmcnt(16)
	v_dual_mov_b32 v250, v117 :: v_dual_mov_b32 v253, v251
	v_wmma_i32_16x16x16_iu8 v[57:64], v[177:180], v[181:184], v[57:64] neg_lo:[1,1,0]
	v_wmma_i32_16x16x16_iu8 v[33:40], v[129:132], v[181:184], v[33:40] neg_lo:[1,1,0]
	;; [unrolled: 1-line block ×8, first 2 shown]
	v_mov_b32_e32 v249, v138
	v_mov_b32_e32 v251, v118
	v_dual_mov_b32 v117, v139 :: v_dual_mov_b32 v118, v140
	s_waitcnt lgkmcnt(14)
	v_dual_mov_b32 v140, v106 :: v_dual_mov_b32 v137, v109
	v_dual_mov_b32 v138, v110 :: v_dual_mov_b32 v139, v105
	;; [unrolled: 1-line block ×3, first 2 shown]
	s_waitcnt lgkmcnt(13)
	v_dual_mov_b32 v109, v244 :: v_dual_mov_b32 v110, v245
	s_waitcnt lgkmcnt(12)
	v_dual_mov_b32 v111, v113 :: v_dual_mov_b32 v112, v114
	v_dual_mov_b32 v113, v246 :: v_dual_mov_b32 v114, v247
	v_wmma_i32_16x16x16_iu8 v[57:64], v[173:176], v[217:220], v[57:64] neg_lo:[1,1,0]
	v_wmma_i32_16x16x16_iu8 v[33:40], v[213:216], v[217:220], v[33:40] neg_lo:[1,1,0]
	;; [unrolled: 1-line block ×8, first 2 shown]
	s_waitcnt lgkmcnt(11)
	v_dual_mov_b32 v244, v205 :: v_dual_mov_b32 v245, v206
	s_waitcnt lgkmcnt(10)
	v_dual_mov_b32 v246, v193 :: v_dual_mov_b32 v247, v194
	;; [unrolled: 2-line block ×3, first 2 shown]
	v_dual_mov_b32 v194, v208 :: v_dual_mov_b32 v205, v121
	s_waitcnt lgkmcnt(8)
	v_dual_mov_b32 v208, v154 :: v_dual_mov_b32 v207, v153
	s_waitcnt lgkmcnt(7)
	v_dual_mov_b32 v122, v186 :: v_dual_mov_b32 v153, v123
	v_mov_b32_e32 v154, v124
	s_waitcnt lgkmcnt(6)
	v_dual_mov_b32 v124, v162 :: v_dual_mov_b32 v121, v185
	s_waitcnt lgkmcnt(5)
	v_dual_mov_b32 v186, v210 :: v_dual_mov_b32 v123, v161
	;; [unrolled: 2-line block ×3, first 2 shown]
	v_mov_b32_e32 v162, v188
	v_wmma_i32_16x16x16_iu8 v[57:64], v[248:251], v[109:112], v[57:64] neg_lo:[1,1,0]
	v_wmma_i32_16x16x16_iu8 v[33:40], v[117:120], v[109:112], v[33:40] neg_lo:[1,1,0]
	;; [unrolled: 1-line block ×8, first 2 shown]
	v_mov_b32_e32 v187, v201
	s_waitcnt lgkmcnt(1)
	v_dual_mov_b32 v201, v211 :: v_dual_mov_b32 v170, v190
	v_mov_b32_e32 v211, v157
	v_mov_b32_e32 v157, v171
	v_dual_mov_b32 v185, v209 :: v_dual_mov_b32 v188, v202
	v_mov_b32_e32 v202, v212
	v_dual_mov_b32 v212, v158 :: v_dual_mov_b32 v209, v169
	v_mov_b32_e32 v158, v172
	s_waitcnt lgkmcnt(0)
	v_dual_mov_b32 v172, v166 :: v_dual_mov_b32 v169, v189
	v_mov_b32_e32 v171, v165
	v_dual_mov_b32 v165, v191 :: v_dual_mov_b32 v166, v192
	v_wmma_i32_16x16x16_iu8 v[57:64], v[244:247], v[121:124], v[57:64] neg_lo:[1,1,0]
	v_wmma_i32_16x16x16_iu8 v[33:40], v[193:196], v[121:124], v[33:40] neg_lo:[1,1,0]
	;; [unrolled: 1-line block ×8, first 2 shown]
	s_add_i32 s3, s3, 2
	s_waitcnt lgkmcnt(0)
	s_cmp_lt_i32 s3, s20
	s_barrier
	v_dual_mov_b32 v106, v88 :: v_dual_mov_b32 v105, v87
	v_dual_mov_b32 v87, v97 :: v_dual_mov_b32 v88, v98
	;; [unrolled: 1-line block ×3, first 2 shown]
	v_mov_b32_e32 v108, v84
	v_dual_mov_b32 v100, v96 :: v_dual_mov_b32 v107, v83
	v_mov_b32_e32 v83, v93
	v_mov_b32_e32 v99, v95
	v_dual_mov_b32 v95, v101 :: v_dual_mov_b32 v84, v94
	v_dual_mov_b32 v214, v144 :: v_dual_mov_b32 v93, v103
	;; [unrolled: 1-line block ×5, first 2 shown]
	v_mov_b32_e32 v219, v67
	v_mov_b32_e32 v67, v145
	v_wmma_i32_16x16x16_iu8 v[57:64], v[185:188], v[169:172], v[57:64] neg_lo:[1,1,0]
	v_dual_mov_b32 v78, v72 :: v_dual_mov_b32 v77, v71
	v_mov_b32_e32 v71, v149
	v_dual_mov_b32 v79, v151 :: v_dual_mov_b32 v80, v152
	v_wmma_i32_16x16x16_iu8 v[33:40], v[201:204], v[169:172], v[33:40] neg_lo:[1,1,0]
	v_wmma_i32_16x16x16_iu8 v[25:32], v[209:212], v[169:172], v[25:32] neg_lo:[1,1,0]
	;; [unrolled: 1-line block ×7, first 2 shown]
	v_mov_b32_e32 v96, v102
	v_mov_b32_e32 v94, v104
	;; [unrolled: 1-line block ×3, first 2 shown]
	v_dual_mov_b32 v68, v146 :: v_dual_mov_b32 v215, v147
	v_mov_b32_e32 v72, v150
	s_cbranch_scc1 .LBB1_1
; %bb.2:
	ds_store_b128 v227, v[85:88]
	ds_store_b128 v227, v[81:84] offset:16
	ds_store_2addr_b64 v227, v[107:108], v[99:100] offset0:131 offset1:132
	ds_store_2addr_b64 v227, v[105:106], v[97:98] offset0:129 offset1:130
	ds_store_2addr_b64 v228, v[89:90], v[95:96] offset1:1
	ds_store_b128 v226, v[91:94] offset:8768
	s_waitcnt lgkmcnt(0)
	s_barrier
	v_add_nc_u32_e32 v96, 0x800, v221
	v_add_nc_u32_e32 v89, 0x800, v224
	;; [unrolled: 1-line block ×4, first 2 shown]
	ds_load_2addr_b64 v[105:108], v224 offset1:32
	ds_load_2addr_b64 v[165:168], v224 offset0:65 offset1:97
	ds_load_2addr_b64 v[81:84], v221 offset1:32
	ds_load_2addr_b64 v[229:232], v221 offset0:129 offset1:161
	ds_load_2addr_b64 v[251:254], v224 offset0:130 offset1:162
	;; [unrolled: 1-line block ×14, first 2 shown]
	s_load_b64 s[0:1], s[0:1], 0x10
	s_mov_b32 s3, 0x31004000
	s_waitcnt lgkmcnt(0)
	v_mov_b32_e32 v123, v83
	v_dual_mov_b32 v83, v229 :: v_dual_mov_b32 v124, v84
	v_dual_mov_b32 v84, v230 :: v_dual_mov_b32 v121, v143
	v_mov_b32_e32 v122, v144
	v_dual_mov_b32 v244, v102 :: v_dual_mov_b32 v245, v85
	v_dual_mov_b32 v243, v101 :: v_dual_mov_b32 v246, v86
	;; [unrolled: 1-line block ×4, first 2 shown]
	scratch_store_b128 off, v[117:120], off offset:84 ; 16-byte Folded Spill
	ds_load_2addr_b64 v[153:156], v221 offset0:193 offset1:225
	ds_load_2addr_b64 v[117:120], v96 offset0:66 offset1:98
	v_mov_b32_e32 v233, v97
	v_mov_b32_e32 v85, v160
	v_dual_mov_b32 v98, v184 :: v_dual_mov_b32 v143, v158
	v_mov_b32_e32 v86, v161
	v_mov_b32_e32 v144, v159
	;; [unrolled: 1-line block ×4, first 2 shown]
	s_waitcnt lgkmcnt(0)
	scratch_store_b128 off, v[117:120], off offset:36 ; 16-byte Folded Spill
	ds_load_2addr_b64 v[145:148], v96 offset0:195 offset1:227
	ds_load_2addr_b64 v[117:120], v157 offset0:68 offset1:100
	s_waitcnt lgkmcnt(0)
	scratch_store_b128 off, v[117:120], off offset:20 ; 16-byte Folded Spill
	ds_load_2addr_b64 v[137:140], v157 offset0:197 offset1:229
	ds_load_2addr_b64 v[117:120], v255 offset0:70 offset1:102
	s_waitcnt lgkmcnt(0)
	scratch_store_b128 off, v[117:120], off offset:4 ; 16-byte Folded Spill
	v_mov_b32_e32 v118, v252
	ds_load_2addr_b64 v[129:132], v255 offset0:199 offset1:231
	s_waitcnt lgkmcnt(0)
	s_waitcnt_vscnt null, 0x0
	s_barrier
	ds_store_b128 v227, v[73:76]
	ds_store_b128 v227, v[65:68] offset:16
	ds_store_2addr_b64 v227, v[219:220], v[215:216] offset0:131 offset1:132
	ds_store_2addr_b64 v227, v[217:218], v[213:214] offset0:129 offset1:130
	ds_store_2addr_b64 v228, v[69:70], v[71:72] offset1:1
	ds_store_b128 v226, v[77:80] offset:8768
	s_waitcnt lgkmcnt(0)
	s_barrier
	ds_load_2addr_b64 v[239:242], v224 offset1:32
	v_dual_mov_b32 v120, v114 :: v_dual_lshlrev_b32 v65, 4, v223
	v_dual_mov_b32 v67, v165 :: v_dual_and_b32 v66, 8, v222
	v_dual_mov_b32 v68, v166 :: v_dual_mov_b32 v117, v251
	ds_load_2addr_b64 v[133:136], v224 offset0:130 offset1:162
	v_and_or_b32 v65, v65, 16, v66
	v_and_b32_e32 v66, 15, v0
	ds_load_2addr_b64 v[169:172], v224 offset0:195 offset1:227
	ds_load_2addr_b64 v[211:214], v255 offset0:6 offset1:38
	v_mov_b32_e32 v119, v113
	v_lshlrev_b32_e32 v65, 5, v65
	ds_load_2addr_b64 v[69:72], v221 offset1:32
	ds_load_2addr_b64 v[199:202], v157 offset0:133 offset1:165
	ds_load_2addr_b64 v[203:206], v255 offset0:135 offset1:167
	v_mov_b32_e32 v166, v108
	v_or3_b32 v95, v65, v225, v66
	v_dual_mov_b32 v65, v105 :: v_dual_mov_b32 v66, v106
	s_waitcnt lgkmcnt(6)
	v_dual_mov_b32 v105, v151 :: v_dual_mov_b32 v216, v240
	v_mov_b32_e32 v215, v239
	ds_load_2addr_b64 v[237:240], v224 offset0:65 offset1:97
	ds_load_2addr_b64 v[177:180], v89 offset0:199 offset1:231
	;; [unrolled: 1-line block ×3, first 2 shown]
	s_waitcnt lgkmcnt(8)
	v_mov_b32_e32 v78, v134
	v_mov_b32_e32 v106, v152
	ds_load_2addr_b64 v[185:188], v89 offset0:134 offset1:166
	s_waitcnt lgkmcnt(7)
	v_dual_mov_b32 v151, v125 :: v_dual_mov_b32 v134, v214
	v_mov_b32_e32 v152, v126
	ds_load_2addr_b64 v[125:128], v221 offset0:129 offset1:161
	v_mov_b32_e32 v80, v170
	ds_load_2addr_b64 v[189:192], v89 offset0:4 offset1:36
	;; [unrolled: 2-line block ×3, first 2 shown]
	v_mov_b32_e32 v79, v169
	v_dual_mov_b32 v133, v213 :: v_dual_mov_b32 v170, v112
	v_mov_b32_e32 v97, v183
	ds_load_2addr_b64 v[227:230], v96 offset0:2 offset1:34
	v_mov_b32_e32 v183, v109
	s_waitcnt lgkmcnt(7)
	v_mov_b32_e32 v217, v237
	s_waitcnt lgkmcnt(6)
	;; [unrolled: 2-line block ×3, first 2 shown]
	v_mov_b32_e32 v101, v225
	ds_load_2addr_b64 v[195:198], v96 offset0:131 offset1:163
	v_mov_b32_e32 v169, v111
	ds_load_2addr_b64 v[109:112], v221 offset0:64 offset1:96
	ds_load_2addr_b64 v[247:250], v221 offset0:193 offset1:225
	;; [unrolled: 1-line block ×3, first 2 shown]
	v_wmma_i32_16x16x16_iu8 v[57:64], v[81:84], v[65:68], v[57:64] neg_lo:[1,1,0]
	s_waitcnt lgkmcnt(8)
	v_dual_mov_b32 v218, v238 :: v_dual_mov_b32 v73, v185
	v_dual_mov_b32 v252, v72 :: v_dual_mov_b32 v251, v71
	s_delay_alu instid0(VALU_DEP_3)
	v_wmma_i32_16x16x16_iu8 v[57:64], v[141:144], v[117:120], v[57:64] neg_lo:[1,1,0]
	s_waitcnt lgkmcnt(7)
	v_dual_mov_b32 v71, v125 :: v_dual_mov_b32 v72, v126
	v_mov_b32_e32 v102, v226
	v_mov_b32_e32 v226, v200
	v_wmma_i32_16x16x16_iu8 v[57:64], v[149:152], v[243:246], v[57:64] neg_lo:[1,1,0]
	s_waitcnt lgkmcnt(6)
	v_dual_mov_b32 v207, v189 :: v_dual_mov_b32 v74, v186
	s_waitcnt lgkmcnt(4)
	v_dual_mov_b32 v89, v229 :: v_dual_mov_b32 v90, v230
	v_wmma_i32_16x16x16_iu8 v[57:64], v[181:184], v[233:236], v[57:64] neg_lo:[1,1,0]
	s_waitcnt lgkmcnt(3)
	v_dual_mov_b32 v208, v190 :: v_dual_mov_b32 v229, v195
	v_mov_b32_e32 v214, v204
	s_waitcnt lgkmcnt(0)
	scratch_store_b128 off, v[158:161], off offset:68 ; 16-byte Folded Spill
	v_mov_b32_e32 v230, v196
	v_wmma_i32_16x16x16_iu8 v[57:64], v[69:72], v[215:218], v[57:64] neg_lo:[1,1,0]
	ds_load_2addr_b64 v[161:164], v96 offset0:195 offset1:227
	ds_load_2addr_b64 v[193:196], v157 offset0:68 offset1:100
	;; [unrolled: 1-line block ×4, first 2 shown]
	v_dual_mov_b32 v209, v173 :: v_dual_mov_b32 v76, v178
	v_dual_mov_b32 v210, v174 :: v_dual_mov_b32 v225, v199
	v_wmma_i32_16x16x16_iu8 v[57:64], v[227:230], v[77:80], v[57:64] neg_lo:[1,1,0]
	v_dual_mov_b32 v213, v203 :: v_dual_mov_b32 v126, v232
	v_lshlrev_b32_e32 v95, 2, v95
	v_mov_b32_e32 v165, v107
	s_delay_alu instid0(VALU_DEP_4)
	v_wmma_i32_16x16x16_iu8 v[57:64], v[223:226], v[207:210], v[57:64] neg_lo:[1,1,0]
	v_mov_b32_e32 v113, v253
	v_mov_b32_e32 v237, v241
	;; [unrolled: 1-line block ×3, first 2 shown]
	v_dual_mov_b32 v173, v191 :: v_dual_mov_b32 v178, v188
	v_wmma_i32_16x16x16_iu8 v[57:64], v[211:214], v[73:76], v[57:64] neg_lo:[1,1,0]
	v_mov_b32_e32 v114, v254
	v_mov_b32_e32 v254, v128
	;; [unrolled: 1-line block ×3, first 2 shown]
	s_waitcnt lgkmcnt(0)
	scratch_store_b128 off, v[219:222], off offset:52 ; 16-byte Folded Spill
	ds_load_2addr_b64 v[219:222], v255 offset0:199 offset1:231
	s_waitcnt lgkmcnt(0)
	s_waitcnt_vscnt null, 0x0
	s_barrier
	ds_store_2addr_b32 v95, v57, v58 offset1:32
	ds_store_2addr_b32 v95, v59, v60 offset0:64 offset1:96
	ds_store_2addr_b32 v95, v61, v62 offset0:128 offset1:160
	;; [unrolled: 1-line block ×3, first 2 shown]
	scratch_load_b128 v[57:60], off, off offset:84 ; 16-byte Folded Reload
	v_mov_b32_e32 v92, v100
	v_mov_b32_e32 v100, v170
	;; [unrolled: 1-line block ×6, first 2 shown]
	s_waitcnt vmcnt(0)
	v_dual_mov_b32 v62, v60 :: v_dual_mov_b32 v61, v59
	v_swap_b32 v59, v153
	v_dual_mov_b32 v60, v154 :: v_dual_mov_b32 v125, v231
	s_delay_alu instid0(VALU_DEP_3) | instskip(SKIP_1) | instid1(VALU_DEP_3)
	v_mov_b32_e32 v154, v62
	v_wmma_i32_16x16x16_iu8 v[49:56], v[81:84], v[165:168], v[49:56] neg_lo:[1,1,0]
	v_wmma_i32_16x16x16_iu8 v[25:32], v[57:60], v[65:68], v[25:32] neg_lo:[1,1,0]
	;; [unrolled: 1-line block ×3, first 2 shown]
	scratch_load_b128 v[59:62], off, off offset:36 ; 16-byte Folded Reload
	v_wmma_i32_16x16x16_iu8 v[41:48], v[123:126], v[165:168], v[41:48] neg_lo:[1,1,0]
	v_wmma_i32_16x16x16_iu8 v[33:40], v[123:126], v[65:68], v[33:40] neg_lo:[1,1,0]
	v_dual_mov_b32 v123, v85 :: v_dual_mov_b32 v124, v86
	v_dual_mov_b32 v85, v103 :: v_dual_mov_b32 v86, v104
	v_wmma_i32_16x16x16_iu8 v[1:8], v[153:156], v[65:68], v[1:8] neg_lo:[1,1,0]
	v_lshrrev_b32_e32 v65, 7, v0
	v_bfe_u32 v66, v0, 2, 5
	scratch_load_b32 v0, off, off           ; 4-byte Folded Reload
	v_wmma_i32_16x16x16_iu8 v[9:16], v[153:156], v[165:168], v[9:16] neg_lo:[1,1,0]
	v_wmma_i32_16x16x16_iu8 v[49:56], v[141:144], v[113:116], v[49:56] neg_lo:[1,1,0]
	v_dual_mov_b32 v177, v187 :: v_dual_mov_b32 v104, v202
	v_mov_b32_e32 v103, v201
	s_delay_alu instid0(VALU_DEP_3)
	v_wmma_i32_16x16x16_iu8 v[49:56], v[149:152], v[85:88], v[49:56] neg_lo:[1,1,0]
	s_waitcnt vmcnt(1)
	v_dual_mov_b32 v57, v59 :: v_dual_mov_b32 v58, v60
	v_dual_mov_b32 v60, v146 :: v_dual_mov_b32 v59, v145
	;; [unrolled: 1-line block ×3, first 2 shown]
	v_wmma_i32_16x16x16_iu8 v[41:48], v[121:124], v[113:116], v[41:48] neg_lo:[1,1,0]
	v_wmma_i32_16x16x16_iu8 v[33:40], v[121:124], v[117:120], v[33:40] neg_lo:[1,1,0]
	s_delay_alu instid0(VALU_DEP_4)
	v_wmma_i32_16x16x16_iu8 v[25:32], v[57:60], v[117:120], v[25:32] neg_lo:[1,1,0]
	v_wmma_i32_16x16x16_iu8 v[17:24], v[57:60], v[113:116], v[17:24] neg_lo:[1,1,0]
	scratch_load_b128 v[59:62], off, off offset:20 ; 16-byte Folded Reload
	v_mov_b32_e32 v107, v91
	v_mov_b32_e32 v91, v99
	v_wmma_i32_16x16x16_iu8 v[9:16], v[145:148], v[113:116], v[9:16] neg_lo:[1,1,0]
	s_waitcnt vmcnt(1)
	v_and_b32_e32 v67, 24, v0
	v_lshlrev_b32_e32 v0, 10, v65
	v_wmma_i32_16x16x16_iu8 v[1:8], v[145:148], v[117:120], v[1:8] neg_lo:[1,1,0]
	v_wmma_i32_16x16x16_iu8 v[49:56], v[181:184], v[91:94], v[49:56] neg_lo:[1,1,0]
	s_delay_alu instid0(VALU_DEP_1)
	v_wmma_i32_16x16x16_iu8 v[49:56], v[69:72], v[237:240], v[49:56] neg_lo:[1,1,0]
	s_waitcnt vmcnt(0)
	v_dual_mov_b32 v57, v59 :: v_dual_mov_b32 v58, v60
	v_dual_mov_b32 v60, v138 :: v_dual_mov_b32 v59, v137
	;; [unrolled: 1-line block ×3, first 2 shown]
	v_wmma_i32_16x16x16_iu8 v[41:48], v[105:108], v[85:88], v[41:48] neg_lo:[1,1,0]
	v_wmma_i32_16x16x16_iu8 v[33:40], v[105:108], v[243:246], v[33:40] neg_lo:[1,1,0]
	s_delay_alu instid0(VALU_DEP_4)
	v_wmma_i32_16x16x16_iu8 v[25:32], v[57:60], v[243:246], v[25:32] neg_lo:[1,1,0]
	v_wmma_i32_16x16x16_iu8 v[17:24], v[57:60], v[85:88], v[17:24] neg_lo:[1,1,0]
	scratch_load_b128 v[59:62], off, off offset:4 ; 16-byte Folded Reload
	v_mov_b32_e32 v99, v169
	v_wmma_i32_16x16x16_iu8 v[9:16], v[137:140], v[85:88], v[9:16] neg_lo:[1,1,0]
	s_waitcnt vmcnt(0) lgkmcnt(0)
	s_barrier
	v_wmma_i32_16x16x16_iu8 v[1:8], v[137:140], v[243:246], v[1:8] neg_lo:[1,1,0]
	v_mov_b32_e32 v169, v135
	v_mov_b32_e32 v135, v205
	s_delay_alu instid0(VALU_DEP_2) | instskip(NEXT) | instid1(VALU_DEP_1)
	v_wmma_i32_16x16x16_iu8 v[49:56], v[227:230], v[169:172], v[49:56] neg_lo:[1,1,0]
	v_wmma_i32_16x16x16_iu8 v[49:56], v[223:226], v[173:176], v[49:56] neg_lo:[1,1,0]
	s_delay_alu instid0(VALU_DEP_1)
	v_wmma_i32_16x16x16_iu8 v[49:56], v[211:214], v[177:180], v[49:56] neg_lo:[1,1,0]
	v_dual_mov_b32 v57, v59 :: v_dual_mov_b32 v58, v60
	v_dual_mov_b32 v60, v130 :: v_dual_mov_b32 v59, v129
	;; [unrolled: 1-line block ×3, first 2 shown]
	v_wmma_i32_16x16x16_iu8 v[41:48], v[97:100], v[91:94], v[41:48] neg_lo:[1,1,0]
	v_wmma_i32_16x16x16_iu8 v[33:40], v[97:100], v[233:236], v[33:40] neg_lo:[1,1,0]
	s_delay_alu instid0(VALU_DEP_4)
	v_wmma_i32_16x16x16_iu8 v[25:32], v[57:60], v[233:236], v[25:32] neg_lo:[1,1,0]
	v_wmma_i32_16x16x16_iu8 v[17:24], v[57:60], v[91:94], v[17:24] neg_lo:[1,1,0]
	v_dual_mov_b32 v57, v109 :: v_dual_mov_b32 v60, v248
	v_dual_mov_b32 v58, v110 :: v_dual_mov_b32 v59, v247
	v_mov_b32_e32 v248, v112
	v_wmma_i32_16x16x16_iu8 v[9:16], v[129:132], v[91:94], v[9:16] neg_lo:[1,1,0]
	v_dual_mov_b32 v92, v198 :: v_dual_mov_b32 v247, v111
	s_delay_alu instid0(VALU_DEP_4)
	v_wmma_i32_16x16x16_iu8 v[25:32], v[57:60], v[215:218], v[25:32] neg_lo:[1,1,0]
	v_wmma_i32_16x16x16_iu8 v[17:24], v[57:60], v[237:240], v[17:24] neg_lo:[1,1,0]
	v_lshlrev_b32_e32 v57, 5, v66
	v_mov_b32_e32 v91, v197
	v_wmma_i32_16x16x16_iu8 v[1:8], v[129:132], v[233:236], v[1:8] neg_lo:[1,1,0]
	v_wmma_i32_16x16x16_iu8 v[41:48], v[251:254], v[237:240], v[41:48] neg_lo:[1,1,0]
	;; [unrolled: 1-line block ×3, first 2 shown]
	v_or3_b32 v0, v57, v0, v67
	v_wmma_i32_16x16x16_iu8 v[9:16], v[247:250], v[237:240], v[9:16] neg_lo:[1,1,0]
	v_wmma_i32_16x16x16_iu8 v[1:8], v[247:250], v[215:218], v[1:8] neg_lo:[1,1,0]
	;; [unrolled: 1-line block ×4, first 2 shown]
	v_lshlrev_b32_e32 v81, 2, v0
	ds_load_b128 v[57:60], v81
	ds_load_b128 v[61:64], v81 offset:16
	v_wmma_i32_16x16x16_iu8 v[41:48], v[101:104], v[173:176], v[41:48] neg_lo:[1,1,0]
	v_wmma_i32_16x16x16_iu8 v[33:40], v[101:104], v[207:210], v[33:40] neg_lo:[1,1,0]
	s_delay_alu instid0(VALU_DEP_2) | instskip(NEXT) | instid1(VALU_DEP_2)
	v_wmma_i32_16x16x16_iu8 v[41:48], v[133:136], v[177:180], v[41:48] neg_lo:[1,1,0]
	v_wmma_i32_16x16x16_iu8 v[33:40], v[133:136], v[73:76], v[33:40] neg_lo:[1,1,0]
	s_waitcnt lgkmcnt(1)
	v_mul_lo_u32 v0, v57, s4
	v_mul_lo_u32 v57, v58, s4
	;; [unrolled: 1-line block ×4, first 2 shown]
	s_waitcnt lgkmcnt(0)
	v_mul_lo_u32 v60, v61, s4
	v_mul_lo_u32 v61, v62, s4
	;; [unrolled: 1-line block ×4, first 2 shown]
	v_add_nc_u32_e32 v64, s11, v65
	s_mov_b32 s11, s3
	s_delay_alu instid0(VALU_DEP_1) | instskip(SKIP_1) | instid1(VALU_DEP_1)
	v_lshl_or_b32 v82, v64, 7, v66
	v_or_b32_e32 v64, s24, v67
	v_mad_u64_u32 v[65:66], null, v82, s7, v[64:65]
	s_lshl_b32 s7, s7, 5
	buffer_load_b64 v[66:67], v65, s[0:3], 0 offen
	s_waitcnt vmcnt(0)
	v_mad_u64_u32 v[68:69], null, v66, s5, v[0:1]
	v_mad_u64_u32 v[69:70], null, v67, s5, v[60:61]
	v_lshrrev_b32_e32 v60, 8, v67
	v_lshrrev_b32_e32 v84, 16, v67
	;; [unrolled: 1-line block ×5, first 2 shown]
	v_mad_u64_u32 v[70:71], null, v60, s5, v[61:62]
	v_mad_u64_u32 v[60:61], null, v84, s5, v[62:63]
	v_lshrrev_b32_e32 v72, 24, v66
	v_mad_u64_u32 v[61:62], null, v85, s5, v[63:64]
	v_mad_u64_u32 v[66:67], null, v0, s5, v[57:58]
	v_and_b32_e32 v0, 0xff, v69
	s_delay_alu instid0(VALU_DEP_4)
	v_mad_u64_u32 v[62:63], null, v72, s5, v[59:60]
	v_mad_u64_u32 v[71:72], null, v83, s5, v[58:59]
	v_and_b32_e32 v57, 0xff, v68
	v_lshlrev_b16 v58, 8, v70
	v_lshlrev_b16 v59, 8, v61
	v_and_b32_e32 v60, 0xff, v60
	v_lshlrev_b16 v61, 8, v66
	v_lshlrev_b16 v62, 8, v62
	v_and_b32_e32 v63, 0xff, v71
	v_or_b32_e32 v0, v0, v58
	v_or_b32_e32 v58, v60, v59
	v_or_b32_e32 v57, v57, v61
	s_delay_alu instid0(VALU_DEP_4) | instskip(NEXT) | instid1(VALU_DEP_4)
	v_or_b32_e32 v59, v63, v62
	v_and_b32_e32 v0, 0xffff, v0
	s_delay_alu instid0(VALU_DEP_4) | instskip(NEXT) | instid1(VALU_DEP_4)
	v_lshlrev_b32_e32 v58, 16, v58
	v_and_b32_e32 v57, 0xffff, v57
	s_delay_alu instid0(VALU_DEP_4) | instskip(NEXT) | instid1(VALU_DEP_3)
	v_lshlrev_b32_e32 v59, 16, v59
	v_or_b32_e32 v58, v0, v58
	s_delay_alu instid0(VALU_DEP_2)
	v_or_b32_e32 v57, v57, v59
	v_mad_u64_u32 v[59:60], null, v82, s6, v[64:65]
	s_lshl_b32 s6, s6, 5
	buffer_store_b64 v[57:58], v59, s[8:11], 0 offen
	s_waitcnt lgkmcnt(0)
	s_waitcnt_vscnt null, 0x0
	s_barrier
	ds_store_2addr_b32 v95, v49, v50 offset1:32
	ds_store_2addr_b32 v95, v51, v52 offset0:64 offset1:96
	ds_store_2addr_b32 v95, v53, v54 offset0:128 offset1:160
	;; [unrolled: 1-line block ×3, first 2 shown]
	s_waitcnt lgkmcnt(0)
	s_barrier
	ds_load_b128 v[49:52], v81
	ds_load_b128 v[53:56], v81 offset:16
	s_waitcnt lgkmcnt(1)
	v_mul_lo_u32 v0, v49, s4
	v_mul_lo_u32 v49, v50, s4
	;; [unrolled: 1-line block ×4, first 2 shown]
	s_waitcnt lgkmcnt(0)
	v_mul_lo_u32 v52, v53, s4
	v_mul_lo_u32 v53, v54, s4
	;; [unrolled: 1-line block ×4, first 2 shown]
	buffer_load_b64 v[56:57], v65, s[0:3], 0 offen offset:32
	s_waitcnt vmcnt(0)
	v_mad_u64_u32 v[60:61], null, v56, s5, v[0:1]
	v_lshrrev_b32_e32 v0, 8, v56
	v_mad_u64_u32 v[61:62], null, v57, s5, v[52:53]
	v_lshrrev_b32_e32 v52, 8, v57
	v_lshrrev_b32_e32 v63, 16, v57
	;; [unrolled: 1-line block ×5, first 2 shown]
	v_mad_u64_u32 v[56:57], null, v0, s5, v[49:50]
	v_mad_u64_u32 v[57:58], null, v52, s5, v[53:54]
	;; [unrolled: 1-line block ×3, first 2 shown]
	v_and_b32_e32 v0, 0xff, v61
	v_and_b32_e32 v49, 0xff, v60
	v_mad_u64_u32 v[53:54], null, v66, s5, v[55:56]
	s_delay_alu instid0(VALU_DEP_4) | instskip(SKIP_2) | instid1(VALU_DEP_4)
	v_mad_u64_u32 v[54:55], null, v62, s5, v[51:52]
	v_mad_u64_u32 v[62:63], null, v64, s5, v[50:51]
	v_lshlrev_b16 v50, 8, v57
	v_lshlrev_b16 v51, 8, v53
	v_and_b32_e32 v52, 0xff, v52
	v_lshlrev_b16 v53, 8, v56
	v_lshlrev_b16 v54, 8, v54
	v_or_b32_e32 v0, v0, v50
	v_and_b32_e32 v55, 0xff, v62
	v_or_b32_e32 v50, v52, v51
	v_or_b32_e32 v49, v49, v53
	s_delay_alu instid0(VALU_DEP_4) | instskip(NEXT) | instid1(VALU_DEP_4)
	v_and_b32_e32 v0, 0xffff, v0
	v_or_b32_e32 v51, v55, v54
	s_delay_alu instid0(VALU_DEP_4) | instskip(NEXT) | instid1(VALU_DEP_4)
	v_lshlrev_b32_e32 v50, 16, v50
	v_and_b32_e32 v49, 0xffff, v49
	v_add_nc_u32_e32 v55, s7, v65
	s_delay_alu instid0(VALU_DEP_4) | instskip(NEXT) | instid1(VALU_DEP_4)
	v_lshlrev_b32_e32 v51, 16, v51
	v_or_b32_e32 v50, v0, v50
	s_delay_alu instid0(VALU_DEP_2)
	v_or_b32_e32 v49, v49, v51
	buffer_store_b64 v[49:50], v59, s[8:11], 0 offen offset:32
	s_waitcnt lgkmcnt(0)
	s_waitcnt_vscnt null, 0x0
	s_barrier
	ds_store_2addr_b32 v95, v41, v42 offset1:32
	ds_store_2addr_b32 v95, v43, v44 offset0:64 offset1:96
	ds_store_2addr_b32 v95, v45, v46 offset0:128 offset1:160
	;; [unrolled: 1-line block ×3, first 2 shown]
	s_waitcnt lgkmcnt(0)
	s_barrier
	ds_load_b128 v[41:44], v81
	ds_load_b128 v[45:48], v81 offset:16
	s_waitcnt lgkmcnt(1)
	v_mul_lo_u32 v0, v41, s4
	v_mul_lo_u32 v41, v42, s4
	;; [unrolled: 1-line block ×4, first 2 shown]
	s_waitcnt lgkmcnt(0)
	v_mul_lo_u32 v44, v45, s4
	v_mul_lo_u32 v45, v46, s4
	;; [unrolled: 1-line block ×4, first 2 shown]
	v_add_nc_u32_e32 v48, 32, v55
	buffer_load_b64 v[48:49], v48, s[0:3], 0 offen
	s_waitcnt vmcnt(0)
	v_mad_u64_u32 v[50:51], null, v48, s5, v[0:1]
	v_lshrrev_b32_e32 v0, 8, v48
	v_mad_u64_u32 v[51:52], null, v49, s5, v[44:45]
	v_lshrrev_b32_e32 v44, 8, v49
	v_lshrrev_b32_e32 v57, 16, v49
	;; [unrolled: 1-line block ×5, first 2 shown]
	v_mad_u64_u32 v[48:49], null, v0, s5, v[41:42]
	v_mad_u64_u32 v[52:53], null, v44, s5, v[45:46]
	;; [unrolled: 1-line block ×3, first 2 shown]
	v_and_b32_e32 v0, 0xff, v51
	v_and_b32_e32 v41, 0xff, v50
	v_mad_u64_u32 v[45:46], null, v58, s5, v[47:48]
	s_delay_alu instid0(VALU_DEP_4) | instskip(SKIP_2) | instid1(VALU_DEP_4)
	v_mad_u64_u32 v[46:47], null, v54, s5, v[43:44]
	v_mad_u64_u32 v[53:54], null, v56, s5, v[42:43]
	v_lshlrev_b16 v42, 8, v52
	v_lshlrev_b16 v43, 8, v45
	v_and_b32_e32 v44, 0xff, v44
	v_lshlrev_b16 v45, 8, v48
	v_lshlrev_b16 v46, 8, v46
	v_or_b32_e32 v0, v0, v42
	v_and_b32_e32 v47, 0xff, v53
	v_or_b32_e32 v42, v44, v43
	v_or_b32_e32 v41, v41, v45
	s_delay_alu instid0(VALU_DEP_4) | instskip(NEXT) | instid1(VALU_DEP_4)
	v_and_b32_e32 v0, 0xffff, v0
	v_or_b32_e32 v43, v47, v46
	s_delay_alu instid0(VALU_DEP_4) | instskip(NEXT) | instid1(VALU_DEP_4)
	v_lshlrev_b32_e32 v42, 16, v42
	v_and_b32_e32 v41, 0xffff, v41
	v_add_nc_u32_e32 v47, s6, v59
	s_delay_alu instid0(VALU_DEP_4) | instskip(NEXT) | instid1(VALU_DEP_4)
	v_lshlrev_b32_e32 v43, 16, v43
	v_or_b32_e32 v42, v0, v42
	s_delay_alu instid0(VALU_DEP_3) | instskip(NEXT) | instid1(VALU_DEP_3)
	v_add_nc_u32_e32 v0, 32, v47
	v_or_b32_e32 v41, v41, v43
	buffer_store_b64 v[41:42], v0, s[8:11], 0 offen
	s_waitcnt lgkmcnt(0)
	s_waitcnt_vscnt null, 0x0
	s_barrier
	ds_store_2addr_b32 v95, v33, v34 offset1:32
	ds_store_2addr_b32 v95, v35, v36 offset0:64 offset1:96
	ds_store_2addr_b32 v95, v37, v38 offset0:128 offset1:160
	;; [unrolled: 1-line block ×3, first 2 shown]
	s_waitcnt lgkmcnt(0)
	s_barrier
	ds_load_b128 v[33:36], v81
	ds_load_b128 v[37:40], v81 offset:16
	s_waitcnt lgkmcnt(1)
	v_mul_lo_u32 v0, v33, s4
	v_mul_lo_u32 v33, v34, s4
	;; [unrolled: 1-line block ×4, first 2 shown]
	s_waitcnt lgkmcnt(0)
	v_mul_lo_u32 v36, v37, s4
	v_mul_lo_u32 v37, v38, s4
	;; [unrolled: 1-line block ×4, first 2 shown]
	buffer_load_b64 v[40:41], v55, s[0:3], 0 offen
	s_waitcnt vmcnt(0)
	v_mad_u64_u32 v[42:43], null, v40, s5, v[0:1]
	v_lshrrev_b32_e32 v0, 8, v40
	v_mad_u64_u32 v[43:44], null, v41, s5, v[36:37]
	v_lshrrev_b32_e32 v36, 8, v41
	v_lshrrev_b32_e32 v49, 16, v41
	;; [unrolled: 1-line block ×5, first 2 shown]
	v_mad_u64_u32 v[40:41], null, v0, s5, v[33:34]
	v_mad_u64_u32 v[44:45], null, v36, s5, v[37:38]
	;; [unrolled: 1-line block ×3, first 2 shown]
	v_and_b32_e32 v0, 0xff, v43
	v_and_b32_e32 v33, 0xff, v42
	v_mad_u64_u32 v[37:38], null, v50, s5, v[39:40]
	s_delay_alu instid0(VALU_DEP_4) | instskip(SKIP_2) | instid1(VALU_DEP_4)
	v_mad_u64_u32 v[38:39], null, v46, s5, v[35:36]
	v_mad_u64_u32 v[45:46], null, v48, s5, v[34:35]
	v_lshlrev_b16 v34, 8, v44
	v_lshlrev_b16 v35, 8, v37
	v_and_b32_e32 v36, 0xff, v36
	v_lshlrev_b16 v37, 8, v40
	v_lshlrev_b16 v38, 8, v38
	v_or_b32_e32 v0, v0, v34
	v_and_b32_e32 v39, 0xff, v45
	v_or_b32_e32 v34, v36, v35
	v_or_b32_e32 v33, v33, v37
	scratch_load_b128 v[41:44], off, off offset:52 ; 16-byte Folded Reload
	v_and_b32_e32 v0, 0xffff, v0
	v_or_b32_e32 v35, v39, v38
	v_lshlrev_b32_e32 v34, 16, v34
	v_and_b32_e32 v33, 0xffff, v33
	v_dual_mov_b32 v37, v193 :: v_dual_mov_b32 v38, v194
	s_delay_alu instid0(VALU_DEP_4) | instskip(NEXT) | instid1(VALU_DEP_4)
	v_lshlrev_b32_e32 v35, 16, v35
	v_or_b32_e32 v34, v0, v34
	v_dual_mov_b32 v39, v157 :: v_dual_mov_b32 v40, v158
	v_mov_b32_e32 v157, v195
	s_delay_alu instid0(VALU_DEP_4)
	v_or_b32_e32 v33, v33, v35
	v_mov_b32_e32 v158, v196
	buffer_store_b64 v[33:34], v47, s[8:11], 0 offen
	scratch_load_b128 v[33:36], off, off offset:68 ; 16-byte Folded Reload
	s_waitcnt vmcnt(0) lgkmcnt(0)
	s_waitcnt_vscnt null, 0x0
	s_barrier
	v_dual_mov_b32 v46, v44 :: v_dual_mov_b32 v45, v43
	v_dual_mov_b32 v43, v219 :: v_dual_mov_b32 v44, v220
	s_delay_alu instid0(VALU_DEP_2) | instskip(SKIP_2) | instid1(VALU_DEP_2)
	v_dual_mov_b32 v220, v46 :: v_dual_mov_b32 v219, v45
	v_dual_mov_b32 v49, v36 :: v_dual_mov_b32 v48, v35
	;; [unrolled: 1-line block ×4, first 2 shown]
	s_delay_alu instid0(VALU_DEP_2) | instskip(SKIP_1) | instid1(VALU_DEP_3)
	v_wmma_i32_16x16x16_iu8 v[25:32], v[33:36], v[77:80], v[25:32] neg_lo:[1,1,0]
	v_wmma_i32_16x16x16_iu8 v[17:24], v[33:36], v[169:172], v[17:24] neg_lo:[1,1,0]
	;; [unrolled: 1-line block ×3, first 2 shown]
	s_delay_alu instid0(VALU_DEP_3) | instskip(NEXT) | instid1(VALU_DEP_3)
	v_wmma_i32_16x16x16_iu8 v[25:32], v[37:40], v[207:210], v[25:32] neg_lo:[1,1,0]
	v_wmma_i32_16x16x16_iu8 v[17:24], v[37:40], v[173:176], v[17:24] neg_lo:[1,1,0]
	v_add_nc_u32_e32 v39, s7, v55
	s_delay_alu instid0(VALU_DEP_4) | instskip(NEXT) | instid1(VALU_DEP_4)
	v_wmma_i32_16x16x16_iu8 v[9:16], v[157:160], v[173:176], v[9:16] neg_lo:[1,1,0]
	v_wmma_i32_16x16x16_iu8 v[25:32], v[41:44], v[73:76], v[25:32] neg_lo:[1,1,0]
	ds_store_2addr_b32 v95, v25, v26 offset1:32
	ds_store_2addr_b32 v95, v27, v28 offset0:64 offset1:96
	ds_store_2addr_b32 v95, v29, v30 offset0:128 offset1:160
	;; [unrolled: 1-line block ×3, first 2 shown]
	s_waitcnt lgkmcnt(0)
	s_barrier
	ds_load_b128 v[25:28], v81
	ds_load_b128 v[29:32], v81 offset:16
	v_wmma_i32_16x16x16_iu8 v[17:24], v[41:44], v[177:180], v[17:24] neg_lo:[1,1,0]
	v_wmma_i32_16x16x16_iu8 v[9:16], v[219:222], v[177:180], v[9:16] neg_lo:[1,1,0]
	s_waitcnt lgkmcnt(1)
	v_mul_lo_u32 v0, v25, s4
	v_mul_lo_u32 v25, v26, s4
	;; [unrolled: 1-line block ×4, first 2 shown]
	s_waitcnt lgkmcnt(0)
	v_mul_lo_u32 v28, v29, s4
	v_mul_lo_u32 v29, v30, s4
	;; [unrolled: 1-line block ×4, first 2 shown]
	buffer_load_b64 v[32:33], v39, s[0:3], 0 offen
	s_waitcnt vmcnt(0)
	v_mad_u64_u32 v[34:35], null, v32, s5, v[0:1]
	v_lshrrev_b32_e32 v0, 8, v32
	v_mad_u64_u32 v[35:36], null, v33, s5, v[28:29]
	v_lshrrev_b32_e32 v28, 8, v33
	v_lshrrev_b32_e32 v41, 16, v33
	;; [unrolled: 1-line block ×5, first 2 shown]
	v_mad_u64_u32 v[32:33], null, v0, s5, v[25:26]
	v_mad_u64_u32 v[36:37], null, v28, s5, v[29:30]
	v_mad_u64_u32 v[28:29], null, v41, s5, v[30:31]
	v_and_b32_e32 v0, 0xff, v35
	v_and_b32_e32 v25, 0xff, v34
	v_mad_u64_u32 v[29:30], null, v42, s5, v[31:32]
	s_delay_alu instid0(VALU_DEP_4) | instskip(SKIP_2) | instid1(VALU_DEP_4)
	v_mad_u64_u32 v[30:31], null, v38, s5, v[27:28]
	v_mad_u64_u32 v[37:38], null, v40, s5, v[26:27]
	v_lshlrev_b16 v26, 8, v36
	v_lshlrev_b16 v27, 8, v29
	v_and_b32_e32 v28, 0xff, v28
	v_lshlrev_b16 v29, 8, v32
	v_lshlrev_b16 v30, 8, v30
	v_or_b32_e32 v0, v0, v26
	v_and_b32_e32 v31, 0xff, v37
	v_or_b32_e32 v26, v28, v27
	v_or_b32_e32 v25, v25, v29
	s_delay_alu instid0(VALU_DEP_4) | instskip(NEXT) | instid1(VALU_DEP_4)
	v_and_b32_e32 v0, 0xffff, v0
	v_or_b32_e32 v27, v31, v30
	s_delay_alu instid0(VALU_DEP_4) | instskip(NEXT) | instid1(VALU_DEP_4)
	v_lshlrev_b32_e32 v26, 16, v26
	v_and_b32_e32 v25, 0xffff, v25
	v_add_nc_u32_e32 v31, s6, v47
	s_delay_alu instid0(VALU_DEP_4) | instskip(NEXT) | instid1(VALU_DEP_4)
	v_lshlrev_b32_e32 v27, 16, v27
	v_or_b32_e32 v26, v0, v26
	s_delay_alu instid0(VALU_DEP_2)
	v_or_b32_e32 v25, v25, v27
	buffer_store_b64 v[25:26], v31, s[8:11], 0 offen
	s_waitcnt lgkmcnt(0)
	s_waitcnt_vscnt null, 0x0
	s_barrier
	ds_store_2addr_b32 v95, v17, v18 offset1:32
	ds_store_2addr_b32 v95, v19, v20 offset0:64 offset1:96
	ds_store_2addr_b32 v95, v21, v22 offset0:128 offset1:160
	ds_store_2addr_b32 v95, v23, v24 offset0:192 offset1:224
	s_waitcnt lgkmcnt(0)
	s_barrier
	ds_load_b128 v[17:20], v81
	ds_load_b128 v[21:24], v81 offset:16
	s_waitcnt lgkmcnt(1)
	v_mul_lo_u32 v0, v17, s4
	v_mul_lo_u32 v17, v18, s4
	;; [unrolled: 1-line block ×4, first 2 shown]
	s_waitcnt lgkmcnt(0)
	v_mul_lo_u32 v20, v21, s4
	v_mul_lo_u32 v21, v22, s4
	;; [unrolled: 1-line block ×4, first 2 shown]
	buffer_load_b64 v[24:25], v39, s[0:3], 0 offen offset:32
	s_waitcnt vmcnt(0)
	v_mad_u64_u32 v[26:27], null, v24, s5, v[0:1]
	v_lshrrev_b32_e32 v0, 8, v24
	v_mad_u64_u32 v[27:28], null, v25, s5, v[20:21]
	v_lshrrev_b32_e32 v20, 8, v25
	v_lshrrev_b32_e32 v33, 16, v25
	;; [unrolled: 1-line block ×5, first 2 shown]
	v_mad_u64_u32 v[24:25], null, v0, s5, v[17:18]
	v_mad_u64_u32 v[28:29], null, v20, s5, v[21:22]
	;; [unrolled: 1-line block ×3, first 2 shown]
	v_and_b32_e32 v0, 0xff, v27
	v_and_b32_e32 v17, 0xff, v26
	v_mad_u64_u32 v[21:22], null, v34, s5, v[23:24]
	s_delay_alu instid0(VALU_DEP_4) | instskip(SKIP_2) | instid1(VALU_DEP_4)
	v_mad_u64_u32 v[22:23], null, v30, s5, v[19:20]
	v_mad_u64_u32 v[29:30], null, v32, s5, v[18:19]
	v_lshlrev_b16 v18, 8, v28
	v_lshlrev_b16 v19, 8, v21
	v_and_b32_e32 v20, 0xff, v20
	v_lshlrev_b16 v21, 8, v24
	v_lshlrev_b16 v22, 8, v22
	v_or_b32_e32 v0, v0, v18
	v_and_b32_e32 v23, 0xff, v29
	v_or_b32_e32 v18, v20, v19
	v_or_b32_e32 v17, v17, v21
	s_delay_alu instid0(VALU_DEP_4) | instskip(NEXT) | instid1(VALU_DEP_4)
	v_and_b32_e32 v0, 0xffff, v0
	v_or_b32_e32 v19, v23, v22
	s_delay_alu instid0(VALU_DEP_4) | instskip(NEXT) | instid1(VALU_DEP_4)
	v_lshlrev_b32_e32 v18, 16, v18
	v_and_b32_e32 v17, 0xffff, v17
	v_add_nc_u32_e32 v23, s7, v39
	s_delay_alu instid0(VALU_DEP_4) | instskip(NEXT) | instid1(VALU_DEP_4)
	v_lshlrev_b32_e32 v19, 16, v19
	v_or_b32_e32 v18, v0, v18
	s_delay_alu instid0(VALU_DEP_2)
	v_or_b32_e32 v17, v17, v19
	buffer_store_b64 v[17:18], v31, s[8:11], 0 offen offset:32
	s_waitcnt lgkmcnt(0)
	s_waitcnt_vscnt null, 0x0
	s_barrier
	ds_store_2addr_b32 v95, v9, v10 offset1:32
	ds_store_2addr_b32 v95, v11, v12 offset0:64 offset1:96
	ds_store_2addr_b32 v95, v13, v14 offset0:128 offset1:160
	;; [unrolled: 1-line block ×3, first 2 shown]
	s_waitcnt lgkmcnt(0)
	s_barrier
	ds_load_b128 v[9:12], v81
	ds_load_b128 v[13:16], v81 offset:16
	s_waitcnt lgkmcnt(1)
	v_mul_lo_u32 v0, v9, s4
	v_mul_lo_u32 v9, v10, s4
	;; [unrolled: 1-line block ×4, first 2 shown]
	s_waitcnt lgkmcnt(0)
	v_mul_lo_u32 v12, v13, s4
	v_mul_lo_u32 v13, v14, s4
	;; [unrolled: 1-line block ×4, first 2 shown]
	v_add_nc_u32_e32 v16, 32, v23
	buffer_load_b64 v[16:17], v16, s[0:3], 0 offen
	s_waitcnt vmcnt(0)
	v_mad_u64_u32 v[18:19], null, v16, s5, v[0:1]
	v_lshrrev_b32_e32 v0, 8, v16
	v_mad_u64_u32 v[19:20], null, v17, s5, v[12:13]
	v_lshrrev_b32_e32 v12, 8, v17
	v_lshrrev_b32_e32 v25, 16, v17
	;; [unrolled: 1-line block ×5, first 2 shown]
	v_mad_u64_u32 v[16:17], null, v0, s5, v[9:10]
	v_mad_u64_u32 v[20:21], null, v12, s5, v[13:14]
	;; [unrolled: 1-line block ×3, first 2 shown]
	v_and_b32_e32 v0, 0xff, v19
	v_and_b32_e32 v9, 0xff, v18
	v_mad_u64_u32 v[13:14], null, v26, s5, v[15:16]
	v_wmma_i32_16x16x16_iu8 v[1:8], v[161:164], v[77:80], v[1:8] neg_lo:[1,1,0]
	v_mad_u64_u32 v[14:15], null, v22, s5, v[11:12]
	v_mad_u64_u32 v[21:22], null, v24, s5, v[10:11]
	v_lshlrev_b16 v10, 8, v20
	v_lshlrev_b16 v11, 8, v13
	v_and_b32_e32 v12, 0xff, v12
	v_lshlrev_b16 v13, 8, v16
	v_lshlrev_b16 v14, 8, v14
	v_or_b32_e32 v0, v0, v10
	v_and_b32_e32 v15, 0xff, v21
	v_or_b32_e32 v10, v12, v11
	v_or_b32_e32 v9, v9, v13
	v_add_nc_u32_e32 v16, s6, v31
	v_and_b32_e32 v0, 0xffff, v0
	v_or_b32_e32 v11, v15, v14
	v_lshlrev_b32_e32 v10, 16, v10
	v_and_b32_e32 v9, 0xffff, v9
	v_wmma_i32_16x16x16_iu8 v[1:8], v[157:160], v[207:210], v[1:8] neg_lo:[1,1,0]
	v_add_nc_u32_e32 v12, 32, v16
	v_lshlrev_b32_e32 v11, 16, v11
	v_or_b32_e32 v10, v0, v10
	s_delay_alu instid0(VALU_DEP_4) | instskip(NEXT) | instid1(VALU_DEP_3)
	v_wmma_i32_16x16x16_iu8 v[1:8], v[219:222], v[73:76], v[1:8] neg_lo:[1,1,0]
	v_or_b32_e32 v9, v9, v11
	buffer_store_b64 v[9:10], v12, s[8:11], 0 offen
	s_waitcnt lgkmcnt(0)
	s_waitcnt_vscnt null, 0x0
	s_barrier
	ds_store_2addr_b32 v95, v1, v2 offset1:32
	ds_store_2addr_b32 v95, v3, v4 offset0:64 offset1:96
	ds_store_2addr_b32 v95, v5, v6 offset0:128 offset1:160
	;; [unrolled: 1-line block ×3, first 2 shown]
	s_waitcnt lgkmcnt(0)
	s_barrier
	buffer_load_b64 v[8:9], v23, s[0:3], 0 offen
	ds_load_b128 v[0:3], v81
	ds_load_b128 v[4:7], v81 offset:16
	s_waitcnt lgkmcnt(1)
	v_mul_lo_u32 v0, v0, s4
	v_mul_lo_u32 v1, v1, s4
	s_waitcnt lgkmcnt(0)
	v_mul_lo_u32 v4, v4, s4
	v_mul_lo_u32 v5, v5, s4
	;; [unrolled: 1-line block ×6, first 2 shown]
	s_waitcnt vmcnt(0)
	v_mad_u64_u32 v[10:11], null, v8, s5, v[0:1]
	v_lshrrev_b32_e32 v0, 8, v8
	v_mad_u64_u32 v[11:12], null, v9, s5, v[4:5]
	v_lshrrev_b32_e32 v4, 8, v9
	v_lshrrev_b32_e32 v13, 16, v9
	;; [unrolled: 1-line block ×5, first 2 shown]
	v_mad_u64_u32 v[8:9], null, v0, s5, v[1:2]
	v_mad_u64_u32 v[0:1], null, v4, s5, v[5:6]
	;; [unrolled: 1-line block ×3, first 2 shown]
	v_and_b32_e32 v1, 0xff, v11
	s_delay_alu instid0(VALU_DEP_4) | instskip(NEXT) | instid1(VALU_DEP_4)
	v_mad_u64_u32 v[5:6], null, v15, s5, v[7:8]
	v_lshlrev_b16 v0, 8, v0
	s_delay_alu instid0(VALU_DEP_4)
	v_mad_u64_u32 v[6:7], null, v12, s5, v[3:4]
	v_mad_u64_u32 v[12:13], null, v14, s5, v[2:3]
	v_and_b32_e32 v2, 0xff, v10
	v_lshlrev_b16 v3, 8, v5
	v_and_b32_e32 v4, 0xff, v4
	v_lshlrev_b16 v5, 8, v8
	v_lshlrev_b16 v6, 8, v6
	v_or_b32_e32 v0, v1, v0
	v_and_b32_e32 v7, 0xff, v12
	v_or_b32_e32 v1, v4, v3
	v_or_b32_e32 v2, v2, v5
	s_delay_alu instid0(VALU_DEP_4) | instskip(NEXT) | instid1(VALU_DEP_4)
	v_and_b32_e32 v0, 0xffff, v0
	v_or_b32_e32 v3, v7, v6
	s_delay_alu instid0(VALU_DEP_4) | instskip(NEXT) | instid1(VALU_DEP_4)
	v_lshlrev_b32_e32 v1, 16, v1
	v_and_b32_e32 v2, 0xffff, v2
	s_delay_alu instid0(VALU_DEP_3) | instskip(NEXT) | instid1(VALU_DEP_3)
	v_lshlrev_b32_e32 v3, 16, v3
	v_or_b32_e32 v1, v0, v1
	s_delay_alu instid0(VALU_DEP_2)
	v_or_b32_e32 v0, v2, v3
	buffer_store_b64 v[0:1], v16, s[8:11], 0 offen
	s_nop 0
	s_sendmsg sendmsg(MSG_DEALLOC_VGPRS)
	s_endpgm
	.section	.rodata,"a",@progbits
	.p2align	6, 0x0
	.amdhsa_kernel _ZN2ck36kernel_gemm_mupltipe_d_wmma_cshuffleINS_26GridwiseGemmMultipleD_WmmaIaaiiNS_5TupleIJaEEEaNS_16TensorDescriptorINS2_IJNS_5EmbedINS2_IJiiEEENS2_IJiNS_17integral_constantIiLi1EEEEEELb0EEENS_11PassThroughIiEESC_NS_7UnMergeINS2_IJiNS7_IiLi8EEEEEELb0EEESC_EEENS2_IJNS_8SequenceIJLi0EEEENSI_IJLi1EEEENSI_IJLi2EEEENSI_IJLi4EEEENSI_IJLi3EEEEEEENS2_IJNSI_IJLi1ELi2EEEESN_SM_NSI_IJLi5ELi6EEEENSI_IJLi7EEEEEEENSI_IJLi5ELi7ELi6EEEElEESU_NS2_IJNS4_INS2_IJSA_SC_SC_EEENS2_IJSJ_SK_SL_EEENS2_IJSP_SN_SM_EEENSI_IJLi3ELi4EEEElEEEEESZ_NS_16tensor_operation12element_wise11PassThroughES13_12AlphaBetaAddLNS_25InMemoryDataOperationEnumE0ELi128ELi64ELi64ELi16ELi16ELi8ELi4ELi2ELi128ENSI_IJLi4ELi32ELi1EEEENSI_IJLi1ELi0ELi2EEEES17_Li2ELi8ELi8ELb0ELb1ELb1ES16_S17_S17_Li2ELi8ELi8ELb0ELb1ELb1ELi1ELi1ENSI_IJLi1ELi32ELi1ELi4EEEELi8ELi2ELNS_13LoopSchedulerE0ELNS_15PipelineVersionE0EEEaaNS2_IJPKaEEEaSU_SU_NS2_IJNS4_INS2_IJSA_SC_SC_NSD_INS2_IJiNS7_IiLi128EEEEEELb0EEENSD_INS2_IJiNS7_IiLi64EEEEEELb0EEEEEENS2_IJSJ_SK_SL_SN_SM_EEENS2_IJSP_SN_SM_SQ_NSI_IJLi7ELi8EEEEEEENSI_IJLi5ELi6ELi7ELi8EEEElEEEEES1Q_S13_S13_S14_NS_31BlockToCTileMap_M00_N0_M01AdaptILi128ELi64ESZ_iEELb1EEEvPKT0_PKT1_T2_PT3_T4_T5_T6_T7_T8_T9_T10_T11_
		.amdhsa_group_segment_fixed_size 12400
		.amdhsa_private_segment_fixed_size 104
		.amdhsa_kernarg_size 296
		.amdhsa_user_sgpr_count 15
		.amdhsa_user_sgpr_dispatch_ptr 0
		.amdhsa_user_sgpr_queue_ptr 0
		.amdhsa_user_sgpr_kernarg_segment_ptr 1
		.amdhsa_user_sgpr_dispatch_id 0
		.amdhsa_user_sgpr_private_segment_size 0
		.amdhsa_wavefront_size32 1
		.amdhsa_uses_dynamic_stack 0
		.amdhsa_enable_private_segment 1
		.amdhsa_system_sgpr_workgroup_id_x 1
		.amdhsa_system_sgpr_workgroup_id_y 0
		.amdhsa_system_sgpr_workgroup_id_z 0
		.amdhsa_system_sgpr_workgroup_info 0
		.amdhsa_system_vgpr_workitem_id 0
		.amdhsa_next_free_vgpr 256
		.amdhsa_next_free_sgpr 28
		.amdhsa_reserve_vcc 0
		.amdhsa_float_round_mode_32 0
		.amdhsa_float_round_mode_16_64 0
		.amdhsa_float_denorm_mode_32 3
		.amdhsa_float_denorm_mode_16_64 3
		.amdhsa_dx10_clamp 1
		.amdhsa_ieee_mode 1
		.amdhsa_fp16_overflow 0
		.amdhsa_workgroup_processor_mode 1
		.amdhsa_memory_ordered 1
		.amdhsa_forward_progress 0
		.amdhsa_shared_vgpr_count 0
		.amdhsa_exception_fp_ieee_invalid_op 0
		.amdhsa_exception_fp_denorm_src 0
		.amdhsa_exception_fp_ieee_div_zero 0
		.amdhsa_exception_fp_ieee_overflow 0
		.amdhsa_exception_fp_ieee_underflow 0
		.amdhsa_exception_fp_ieee_inexact 0
		.amdhsa_exception_int_div_zero 0
	.end_amdhsa_kernel
	.section	.text._ZN2ck36kernel_gemm_mupltipe_d_wmma_cshuffleINS_26GridwiseGemmMultipleD_WmmaIaaiiNS_5TupleIJaEEEaNS_16TensorDescriptorINS2_IJNS_5EmbedINS2_IJiiEEENS2_IJiNS_17integral_constantIiLi1EEEEEELb0EEENS_11PassThroughIiEESC_NS_7UnMergeINS2_IJiNS7_IiLi8EEEEEELb0EEESC_EEENS2_IJNS_8SequenceIJLi0EEEENSI_IJLi1EEEENSI_IJLi2EEEENSI_IJLi4EEEENSI_IJLi3EEEEEEENS2_IJNSI_IJLi1ELi2EEEESN_SM_NSI_IJLi5ELi6EEEENSI_IJLi7EEEEEEENSI_IJLi5ELi7ELi6EEEElEESU_NS2_IJNS4_INS2_IJSA_SC_SC_EEENS2_IJSJ_SK_SL_EEENS2_IJSP_SN_SM_EEENSI_IJLi3ELi4EEEElEEEEESZ_NS_16tensor_operation12element_wise11PassThroughES13_12AlphaBetaAddLNS_25InMemoryDataOperationEnumE0ELi128ELi64ELi64ELi16ELi16ELi8ELi4ELi2ELi128ENSI_IJLi4ELi32ELi1EEEENSI_IJLi1ELi0ELi2EEEES17_Li2ELi8ELi8ELb0ELb1ELb1ES16_S17_S17_Li2ELi8ELi8ELb0ELb1ELb1ELi1ELi1ENSI_IJLi1ELi32ELi1ELi4EEEELi8ELi2ELNS_13LoopSchedulerE0ELNS_15PipelineVersionE0EEEaaNS2_IJPKaEEEaSU_SU_NS2_IJNS4_INS2_IJSA_SC_SC_NSD_INS2_IJiNS7_IiLi128EEEEEELb0EEENSD_INS2_IJiNS7_IiLi64EEEEEELb0EEEEEENS2_IJSJ_SK_SL_SN_SM_EEENS2_IJSP_SN_SM_SQ_NSI_IJLi7ELi8EEEEEEENSI_IJLi5ELi6ELi7ELi8EEEElEEEEES1Q_S13_S13_S14_NS_31BlockToCTileMap_M00_N0_M01AdaptILi128ELi64ESZ_iEELb1EEEvPKT0_PKT1_T2_PT3_T4_T5_T6_T7_T8_T9_T10_T11_,"axG",@progbits,_ZN2ck36kernel_gemm_mupltipe_d_wmma_cshuffleINS_26GridwiseGemmMultipleD_WmmaIaaiiNS_5TupleIJaEEEaNS_16TensorDescriptorINS2_IJNS_5EmbedINS2_IJiiEEENS2_IJiNS_17integral_constantIiLi1EEEEEELb0EEENS_11PassThroughIiEESC_NS_7UnMergeINS2_IJiNS7_IiLi8EEEEEELb0EEESC_EEENS2_IJNS_8SequenceIJLi0EEEENSI_IJLi1EEEENSI_IJLi2EEEENSI_IJLi4EEEENSI_IJLi3EEEEEEENS2_IJNSI_IJLi1ELi2EEEESN_SM_NSI_IJLi5ELi6EEEENSI_IJLi7EEEEEEENSI_IJLi5ELi7ELi6EEEElEESU_NS2_IJNS4_INS2_IJSA_SC_SC_EEENS2_IJSJ_SK_SL_EEENS2_IJSP_SN_SM_EEENSI_IJLi3ELi4EEEElEEEEESZ_NS_16tensor_operation12element_wise11PassThroughES13_12AlphaBetaAddLNS_25InMemoryDataOperationEnumE0ELi128ELi64ELi64ELi16ELi16ELi8ELi4ELi2ELi128ENSI_IJLi4ELi32ELi1EEEENSI_IJLi1ELi0ELi2EEEES17_Li2ELi8ELi8ELb0ELb1ELb1ES16_S17_S17_Li2ELi8ELi8ELb0ELb1ELb1ELi1ELi1ENSI_IJLi1ELi32ELi1ELi4EEEELi8ELi2ELNS_13LoopSchedulerE0ELNS_15PipelineVersionE0EEEaaNS2_IJPKaEEEaSU_SU_NS2_IJNS4_INS2_IJSA_SC_SC_NSD_INS2_IJiNS7_IiLi128EEEEEELb0EEENSD_INS2_IJiNS7_IiLi64EEEEEELb0EEEEEENS2_IJSJ_SK_SL_SN_SM_EEENS2_IJSP_SN_SM_SQ_NSI_IJLi7ELi8EEEEEEENSI_IJLi5ELi6ELi7ELi8EEEElEEEEES1Q_S13_S13_S14_NS_31BlockToCTileMap_M00_N0_M01AdaptILi128ELi64ESZ_iEELb1EEEvPKT0_PKT1_T2_PT3_T4_T5_T6_T7_T8_T9_T10_T11_,comdat
.Lfunc_end1:
	.size	_ZN2ck36kernel_gemm_mupltipe_d_wmma_cshuffleINS_26GridwiseGemmMultipleD_WmmaIaaiiNS_5TupleIJaEEEaNS_16TensorDescriptorINS2_IJNS_5EmbedINS2_IJiiEEENS2_IJiNS_17integral_constantIiLi1EEEEEELb0EEENS_11PassThroughIiEESC_NS_7UnMergeINS2_IJiNS7_IiLi8EEEEEELb0EEESC_EEENS2_IJNS_8SequenceIJLi0EEEENSI_IJLi1EEEENSI_IJLi2EEEENSI_IJLi4EEEENSI_IJLi3EEEEEEENS2_IJNSI_IJLi1ELi2EEEESN_SM_NSI_IJLi5ELi6EEEENSI_IJLi7EEEEEEENSI_IJLi5ELi7ELi6EEEElEESU_NS2_IJNS4_INS2_IJSA_SC_SC_EEENS2_IJSJ_SK_SL_EEENS2_IJSP_SN_SM_EEENSI_IJLi3ELi4EEEElEEEEESZ_NS_16tensor_operation12element_wise11PassThroughES13_12AlphaBetaAddLNS_25InMemoryDataOperationEnumE0ELi128ELi64ELi64ELi16ELi16ELi8ELi4ELi2ELi128ENSI_IJLi4ELi32ELi1EEEENSI_IJLi1ELi0ELi2EEEES17_Li2ELi8ELi8ELb0ELb1ELb1ES16_S17_S17_Li2ELi8ELi8ELb0ELb1ELb1ELi1ELi1ENSI_IJLi1ELi32ELi1ELi4EEEELi8ELi2ELNS_13LoopSchedulerE0ELNS_15PipelineVersionE0EEEaaNS2_IJPKaEEEaSU_SU_NS2_IJNS4_INS2_IJSA_SC_SC_NSD_INS2_IJiNS7_IiLi128EEEEEELb0EEENSD_INS2_IJiNS7_IiLi64EEEEEELb0EEEEEENS2_IJSJ_SK_SL_SN_SM_EEENS2_IJSP_SN_SM_SQ_NSI_IJLi7ELi8EEEEEEENSI_IJLi5ELi6ELi7ELi8EEEElEEEEES1Q_S13_S13_S14_NS_31BlockToCTileMap_M00_N0_M01AdaptILi128ELi64ESZ_iEELb1EEEvPKT0_PKT1_T2_PT3_T4_T5_T6_T7_T8_T9_T10_T11_, .Lfunc_end1-_ZN2ck36kernel_gemm_mupltipe_d_wmma_cshuffleINS_26GridwiseGemmMultipleD_WmmaIaaiiNS_5TupleIJaEEEaNS_16TensorDescriptorINS2_IJNS_5EmbedINS2_IJiiEEENS2_IJiNS_17integral_constantIiLi1EEEEEELb0EEENS_11PassThroughIiEESC_NS_7UnMergeINS2_IJiNS7_IiLi8EEEEEELb0EEESC_EEENS2_IJNS_8SequenceIJLi0EEEENSI_IJLi1EEEENSI_IJLi2EEEENSI_IJLi4EEEENSI_IJLi3EEEEEEENS2_IJNSI_IJLi1ELi2EEEESN_SM_NSI_IJLi5ELi6EEEENSI_IJLi7EEEEEEENSI_IJLi5ELi7ELi6EEEElEESU_NS2_IJNS4_INS2_IJSA_SC_SC_EEENS2_IJSJ_SK_SL_EEENS2_IJSP_SN_SM_EEENSI_IJLi3ELi4EEEElEEEEESZ_NS_16tensor_operation12element_wise11PassThroughES13_12AlphaBetaAddLNS_25InMemoryDataOperationEnumE0ELi128ELi64ELi64ELi16ELi16ELi8ELi4ELi2ELi128ENSI_IJLi4ELi32ELi1EEEENSI_IJLi1ELi0ELi2EEEES17_Li2ELi8ELi8ELb0ELb1ELb1ES16_S17_S17_Li2ELi8ELi8ELb0ELb1ELb1ELi1ELi1ENSI_IJLi1ELi32ELi1ELi4EEEELi8ELi2ELNS_13LoopSchedulerE0ELNS_15PipelineVersionE0EEEaaNS2_IJPKaEEEaSU_SU_NS2_IJNS4_INS2_IJSA_SC_SC_NSD_INS2_IJiNS7_IiLi128EEEEEELb0EEENSD_INS2_IJiNS7_IiLi64EEEEEELb0EEEEEENS2_IJSJ_SK_SL_SN_SM_EEENS2_IJSP_SN_SM_SQ_NSI_IJLi7ELi8EEEEEEENSI_IJLi5ELi6ELi7ELi8EEEElEEEEES1Q_S13_S13_S14_NS_31BlockToCTileMap_M00_N0_M01AdaptILi128ELi64ESZ_iEELb1EEEvPKT0_PKT1_T2_PT3_T4_T5_T6_T7_T8_T9_T10_T11_
                                        ; -- End function
	.section	.AMDGPU.csdata,"",@progbits
; Kernel info:
; codeLenInByte = 8808
; NumSgprs: 28
; NumVgprs: 256
; ScratchSize: 104
; MemoryBound: 0
; FloatMode: 240
; IeeeMode: 1
; LDSByteSize: 12400 bytes/workgroup (compile time only)
; SGPRBlocks: 3
; VGPRBlocks: 31
; NumSGPRsForWavesPerEU: 28
; NumVGPRsForWavesPerEU: 256
; Occupancy: 5
; WaveLimiterHint : 0
; COMPUTE_PGM_RSRC2:SCRATCH_EN: 1
; COMPUTE_PGM_RSRC2:USER_SGPR: 15
; COMPUTE_PGM_RSRC2:TRAP_HANDLER: 0
; COMPUTE_PGM_RSRC2:TGID_X_EN: 1
; COMPUTE_PGM_RSRC2:TGID_Y_EN: 0
; COMPUTE_PGM_RSRC2:TGID_Z_EN: 0
; COMPUTE_PGM_RSRC2:TIDIG_COMP_CNT: 0
	.section	.text._ZN2ck36kernel_gemm_mupltipe_d_wmma_cshuffleINS_26GridwiseGemmMultipleD_WmmaIaaiiNS_5TupleIJaEEEaNS_16TensorDescriptorINS2_IJNS_5EmbedINS2_IJiiEEENS2_IJiNS_17integral_constantIiLi1EEEEEELb0EEENS_11PassThroughIiEESC_NS_7UnMergeINS2_IJiNS7_IiLi8EEEEEELb0EEESC_EEENS2_IJNS_8SequenceIJLi0EEEENSI_IJLi1EEEENSI_IJLi2EEEENSI_IJLi4EEEENSI_IJLi3EEEEEEENS2_IJNSI_IJLi1ELi2EEEESN_SM_NSI_IJLi5ELi6EEEENSI_IJLi7EEEEEEENSI_IJLi5ELi7ELi6EEEElEESU_NS2_IJNS4_INS2_IJSA_SC_SC_EEENS2_IJSJ_SK_SL_EEENS2_IJSP_SN_SM_EEENSI_IJLi3ELi4EEEElEEEEESZ_NS_16tensor_operation12element_wise11PassThroughES13_12AlphaBetaAddLNS_25InMemoryDataOperationEnumE0ELi128ELi64ELi64ELi16ELi16ELi8ELi4ELi2ELi128ENSI_IJLi4ELi32ELi1EEEENSI_IJLi1ELi0ELi2EEEES17_Li2ELi8ELi8ELb0ELb1ELb1ES16_S17_S17_Li2ELi8ELi8ELb0ELb1ELb1ELi1ELi1ENSI_IJLi1ELi32ELi1ELi4EEEELi8ELi2ELNS_13LoopSchedulerE0ELNS_15PipelineVersionE0EEEaaNS2_IJPKaEEEaSU_SU_NS2_IJNS4_INS2_IJSA_SC_SC_NSD_INS2_IJiNS7_IiLi128EEEEEELb0EEENSD_INS2_IJiNS7_IiLi64EEEEEELb0EEEEEENS2_IJSJ_SK_SL_SN_SM_EEENS2_IJSP_SN_SM_SQ_NSI_IJLi7ELi8EEEEEEENSI_IJLi5ELi6ELi7ELi8EEEElEEEEES1Q_S13_S13_S14_NS_31BlockToCTileMap_M00_N0_M01AdaptILi128ELi64ESZ_iEELb0EEEvPKT0_PKT1_T2_PT3_T4_T5_T6_T7_T8_T9_T10_T11_,"axG",@progbits,_ZN2ck36kernel_gemm_mupltipe_d_wmma_cshuffleINS_26GridwiseGemmMultipleD_WmmaIaaiiNS_5TupleIJaEEEaNS_16TensorDescriptorINS2_IJNS_5EmbedINS2_IJiiEEENS2_IJiNS_17integral_constantIiLi1EEEEEELb0EEENS_11PassThroughIiEESC_NS_7UnMergeINS2_IJiNS7_IiLi8EEEEEELb0EEESC_EEENS2_IJNS_8SequenceIJLi0EEEENSI_IJLi1EEEENSI_IJLi2EEEENSI_IJLi4EEEENSI_IJLi3EEEEEEENS2_IJNSI_IJLi1ELi2EEEESN_SM_NSI_IJLi5ELi6EEEENSI_IJLi7EEEEEEENSI_IJLi5ELi7ELi6EEEElEESU_NS2_IJNS4_INS2_IJSA_SC_SC_EEENS2_IJSJ_SK_SL_EEENS2_IJSP_SN_SM_EEENSI_IJLi3ELi4EEEElEEEEESZ_NS_16tensor_operation12element_wise11PassThroughES13_12AlphaBetaAddLNS_25InMemoryDataOperationEnumE0ELi128ELi64ELi64ELi16ELi16ELi8ELi4ELi2ELi128ENSI_IJLi4ELi32ELi1EEEENSI_IJLi1ELi0ELi2EEEES17_Li2ELi8ELi8ELb0ELb1ELb1ES16_S17_S17_Li2ELi8ELi8ELb0ELb1ELb1ELi1ELi1ENSI_IJLi1ELi32ELi1ELi4EEEELi8ELi2ELNS_13LoopSchedulerE0ELNS_15PipelineVersionE0EEEaaNS2_IJPKaEEEaSU_SU_NS2_IJNS4_INS2_IJSA_SC_SC_NSD_INS2_IJiNS7_IiLi128EEEEEELb0EEENSD_INS2_IJiNS7_IiLi64EEEEEELb0EEEEEENS2_IJSJ_SK_SL_SN_SM_EEENS2_IJSP_SN_SM_SQ_NSI_IJLi7ELi8EEEEEEENSI_IJLi5ELi6ELi7ELi8EEEElEEEEES1Q_S13_S13_S14_NS_31BlockToCTileMap_M00_N0_M01AdaptILi128ELi64ESZ_iEELb0EEEvPKT0_PKT1_T2_PT3_T4_T5_T6_T7_T8_T9_T10_T11_,comdat
	.protected	_ZN2ck36kernel_gemm_mupltipe_d_wmma_cshuffleINS_26GridwiseGemmMultipleD_WmmaIaaiiNS_5TupleIJaEEEaNS_16TensorDescriptorINS2_IJNS_5EmbedINS2_IJiiEEENS2_IJiNS_17integral_constantIiLi1EEEEEELb0EEENS_11PassThroughIiEESC_NS_7UnMergeINS2_IJiNS7_IiLi8EEEEEELb0EEESC_EEENS2_IJNS_8SequenceIJLi0EEEENSI_IJLi1EEEENSI_IJLi2EEEENSI_IJLi4EEEENSI_IJLi3EEEEEEENS2_IJNSI_IJLi1ELi2EEEESN_SM_NSI_IJLi5ELi6EEEENSI_IJLi7EEEEEEENSI_IJLi5ELi7ELi6EEEElEESU_NS2_IJNS4_INS2_IJSA_SC_SC_EEENS2_IJSJ_SK_SL_EEENS2_IJSP_SN_SM_EEENSI_IJLi3ELi4EEEElEEEEESZ_NS_16tensor_operation12element_wise11PassThroughES13_12AlphaBetaAddLNS_25InMemoryDataOperationEnumE0ELi128ELi64ELi64ELi16ELi16ELi8ELi4ELi2ELi128ENSI_IJLi4ELi32ELi1EEEENSI_IJLi1ELi0ELi2EEEES17_Li2ELi8ELi8ELb0ELb1ELb1ES16_S17_S17_Li2ELi8ELi8ELb0ELb1ELb1ELi1ELi1ENSI_IJLi1ELi32ELi1ELi4EEEELi8ELi2ELNS_13LoopSchedulerE0ELNS_15PipelineVersionE0EEEaaNS2_IJPKaEEEaSU_SU_NS2_IJNS4_INS2_IJSA_SC_SC_NSD_INS2_IJiNS7_IiLi128EEEEEELb0EEENSD_INS2_IJiNS7_IiLi64EEEEEELb0EEEEEENS2_IJSJ_SK_SL_SN_SM_EEENS2_IJSP_SN_SM_SQ_NSI_IJLi7ELi8EEEEEEENSI_IJLi5ELi6ELi7ELi8EEEElEEEEES1Q_S13_S13_S14_NS_31BlockToCTileMap_M00_N0_M01AdaptILi128ELi64ESZ_iEELb0EEEvPKT0_PKT1_T2_PT3_T4_T5_T6_T7_T8_T9_T10_T11_ ; -- Begin function _ZN2ck36kernel_gemm_mupltipe_d_wmma_cshuffleINS_26GridwiseGemmMultipleD_WmmaIaaiiNS_5TupleIJaEEEaNS_16TensorDescriptorINS2_IJNS_5EmbedINS2_IJiiEEENS2_IJiNS_17integral_constantIiLi1EEEEEELb0EEENS_11PassThroughIiEESC_NS_7UnMergeINS2_IJiNS7_IiLi8EEEEEELb0EEESC_EEENS2_IJNS_8SequenceIJLi0EEEENSI_IJLi1EEEENSI_IJLi2EEEENSI_IJLi4EEEENSI_IJLi3EEEEEEENS2_IJNSI_IJLi1ELi2EEEESN_SM_NSI_IJLi5ELi6EEEENSI_IJLi7EEEEEEENSI_IJLi5ELi7ELi6EEEElEESU_NS2_IJNS4_INS2_IJSA_SC_SC_EEENS2_IJSJ_SK_SL_EEENS2_IJSP_SN_SM_EEENSI_IJLi3ELi4EEEElEEEEESZ_NS_16tensor_operation12element_wise11PassThroughES13_12AlphaBetaAddLNS_25InMemoryDataOperationEnumE0ELi128ELi64ELi64ELi16ELi16ELi8ELi4ELi2ELi128ENSI_IJLi4ELi32ELi1EEEENSI_IJLi1ELi0ELi2EEEES17_Li2ELi8ELi8ELb0ELb1ELb1ES16_S17_S17_Li2ELi8ELi8ELb0ELb1ELb1ELi1ELi1ENSI_IJLi1ELi32ELi1ELi4EEEELi8ELi2ELNS_13LoopSchedulerE0ELNS_15PipelineVersionE0EEEaaNS2_IJPKaEEEaSU_SU_NS2_IJNS4_INS2_IJSA_SC_SC_NSD_INS2_IJiNS7_IiLi128EEEEEELb0EEENSD_INS2_IJiNS7_IiLi64EEEEEELb0EEEEEENS2_IJSJ_SK_SL_SN_SM_EEENS2_IJSP_SN_SM_SQ_NSI_IJLi7ELi8EEEEEEENSI_IJLi5ELi6ELi7ELi8EEEElEEEEES1Q_S13_S13_S14_NS_31BlockToCTileMap_M00_N0_M01AdaptILi128ELi64ESZ_iEELb0EEEvPKT0_PKT1_T2_PT3_T4_T5_T6_T7_T8_T9_T10_T11_
	.globl	_ZN2ck36kernel_gemm_mupltipe_d_wmma_cshuffleINS_26GridwiseGemmMultipleD_WmmaIaaiiNS_5TupleIJaEEEaNS_16TensorDescriptorINS2_IJNS_5EmbedINS2_IJiiEEENS2_IJiNS_17integral_constantIiLi1EEEEEELb0EEENS_11PassThroughIiEESC_NS_7UnMergeINS2_IJiNS7_IiLi8EEEEEELb0EEESC_EEENS2_IJNS_8SequenceIJLi0EEEENSI_IJLi1EEEENSI_IJLi2EEEENSI_IJLi4EEEENSI_IJLi3EEEEEEENS2_IJNSI_IJLi1ELi2EEEESN_SM_NSI_IJLi5ELi6EEEENSI_IJLi7EEEEEEENSI_IJLi5ELi7ELi6EEEElEESU_NS2_IJNS4_INS2_IJSA_SC_SC_EEENS2_IJSJ_SK_SL_EEENS2_IJSP_SN_SM_EEENSI_IJLi3ELi4EEEElEEEEESZ_NS_16tensor_operation12element_wise11PassThroughES13_12AlphaBetaAddLNS_25InMemoryDataOperationEnumE0ELi128ELi64ELi64ELi16ELi16ELi8ELi4ELi2ELi128ENSI_IJLi4ELi32ELi1EEEENSI_IJLi1ELi0ELi2EEEES17_Li2ELi8ELi8ELb0ELb1ELb1ES16_S17_S17_Li2ELi8ELi8ELb0ELb1ELb1ELi1ELi1ENSI_IJLi1ELi32ELi1ELi4EEEELi8ELi2ELNS_13LoopSchedulerE0ELNS_15PipelineVersionE0EEEaaNS2_IJPKaEEEaSU_SU_NS2_IJNS4_INS2_IJSA_SC_SC_NSD_INS2_IJiNS7_IiLi128EEEEEELb0EEENSD_INS2_IJiNS7_IiLi64EEEEEELb0EEEEEENS2_IJSJ_SK_SL_SN_SM_EEENS2_IJSP_SN_SM_SQ_NSI_IJLi7ELi8EEEEEEENSI_IJLi5ELi6ELi7ELi8EEEElEEEEES1Q_S13_S13_S14_NS_31BlockToCTileMap_M00_N0_M01AdaptILi128ELi64ESZ_iEELb0EEEvPKT0_PKT1_T2_PT3_T4_T5_T6_T7_T8_T9_T10_T11_
	.p2align	8
	.type	_ZN2ck36kernel_gemm_mupltipe_d_wmma_cshuffleINS_26GridwiseGemmMultipleD_WmmaIaaiiNS_5TupleIJaEEEaNS_16TensorDescriptorINS2_IJNS_5EmbedINS2_IJiiEEENS2_IJiNS_17integral_constantIiLi1EEEEEELb0EEENS_11PassThroughIiEESC_NS_7UnMergeINS2_IJiNS7_IiLi8EEEEEELb0EEESC_EEENS2_IJNS_8SequenceIJLi0EEEENSI_IJLi1EEEENSI_IJLi2EEEENSI_IJLi4EEEENSI_IJLi3EEEEEEENS2_IJNSI_IJLi1ELi2EEEESN_SM_NSI_IJLi5ELi6EEEENSI_IJLi7EEEEEEENSI_IJLi5ELi7ELi6EEEElEESU_NS2_IJNS4_INS2_IJSA_SC_SC_EEENS2_IJSJ_SK_SL_EEENS2_IJSP_SN_SM_EEENSI_IJLi3ELi4EEEElEEEEESZ_NS_16tensor_operation12element_wise11PassThroughES13_12AlphaBetaAddLNS_25InMemoryDataOperationEnumE0ELi128ELi64ELi64ELi16ELi16ELi8ELi4ELi2ELi128ENSI_IJLi4ELi32ELi1EEEENSI_IJLi1ELi0ELi2EEEES17_Li2ELi8ELi8ELb0ELb1ELb1ES16_S17_S17_Li2ELi8ELi8ELb0ELb1ELb1ELi1ELi1ENSI_IJLi1ELi32ELi1ELi4EEEELi8ELi2ELNS_13LoopSchedulerE0ELNS_15PipelineVersionE0EEEaaNS2_IJPKaEEEaSU_SU_NS2_IJNS4_INS2_IJSA_SC_SC_NSD_INS2_IJiNS7_IiLi128EEEEEELb0EEENSD_INS2_IJiNS7_IiLi64EEEEEELb0EEEEEENS2_IJSJ_SK_SL_SN_SM_EEENS2_IJSP_SN_SM_SQ_NSI_IJLi7ELi8EEEEEEENSI_IJLi5ELi6ELi7ELi8EEEElEEEEES1Q_S13_S13_S14_NS_31BlockToCTileMap_M00_N0_M01AdaptILi128ELi64ESZ_iEELb0EEEvPKT0_PKT1_T2_PT3_T4_T5_T6_T7_T8_T9_T10_T11_,@function
_ZN2ck36kernel_gemm_mupltipe_d_wmma_cshuffleINS_26GridwiseGemmMultipleD_WmmaIaaiiNS_5TupleIJaEEEaNS_16TensorDescriptorINS2_IJNS_5EmbedINS2_IJiiEEENS2_IJiNS_17integral_constantIiLi1EEEEEELb0EEENS_11PassThroughIiEESC_NS_7UnMergeINS2_IJiNS7_IiLi8EEEEEELb0EEESC_EEENS2_IJNS_8SequenceIJLi0EEEENSI_IJLi1EEEENSI_IJLi2EEEENSI_IJLi4EEEENSI_IJLi3EEEEEEENS2_IJNSI_IJLi1ELi2EEEESN_SM_NSI_IJLi5ELi6EEEENSI_IJLi7EEEEEEENSI_IJLi5ELi7ELi6EEEElEESU_NS2_IJNS4_INS2_IJSA_SC_SC_EEENS2_IJSJ_SK_SL_EEENS2_IJSP_SN_SM_EEENSI_IJLi3ELi4EEEElEEEEESZ_NS_16tensor_operation12element_wise11PassThroughES13_12AlphaBetaAddLNS_25InMemoryDataOperationEnumE0ELi128ELi64ELi64ELi16ELi16ELi8ELi4ELi2ELi128ENSI_IJLi4ELi32ELi1EEEENSI_IJLi1ELi0ELi2EEEES17_Li2ELi8ELi8ELb0ELb1ELb1ES16_S17_S17_Li2ELi8ELi8ELb0ELb1ELb1ELi1ELi1ENSI_IJLi1ELi32ELi1ELi4EEEELi8ELi2ELNS_13LoopSchedulerE0ELNS_15PipelineVersionE0EEEaaNS2_IJPKaEEEaSU_SU_NS2_IJNS4_INS2_IJSA_SC_SC_NSD_INS2_IJiNS7_IiLi128EEEEEELb0EEENSD_INS2_IJiNS7_IiLi64EEEEEELb0EEEEEENS2_IJSJ_SK_SL_SN_SM_EEENS2_IJSP_SN_SM_SQ_NSI_IJLi7ELi8EEEEEEENSI_IJLi5ELi6ELi7ELi8EEEElEEEEES1Q_S13_S13_S14_NS_31BlockToCTileMap_M00_N0_M01AdaptILi128ELi64ESZ_iEELb0EEEvPKT0_PKT1_T2_PT3_T4_T5_T6_T7_T8_T9_T10_T11_: ; @_ZN2ck36kernel_gemm_mupltipe_d_wmma_cshuffleINS_26GridwiseGemmMultipleD_WmmaIaaiiNS_5TupleIJaEEEaNS_16TensorDescriptorINS2_IJNS_5EmbedINS2_IJiiEEENS2_IJiNS_17integral_constantIiLi1EEEEEELb0EEENS_11PassThroughIiEESC_NS_7UnMergeINS2_IJiNS7_IiLi8EEEEEELb0EEESC_EEENS2_IJNS_8SequenceIJLi0EEEENSI_IJLi1EEEENSI_IJLi2EEEENSI_IJLi4EEEENSI_IJLi3EEEEEEENS2_IJNSI_IJLi1ELi2EEEESN_SM_NSI_IJLi5ELi6EEEENSI_IJLi7EEEEEEENSI_IJLi5ELi7ELi6EEEElEESU_NS2_IJNS4_INS2_IJSA_SC_SC_EEENS2_IJSJ_SK_SL_EEENS2_IJSP_SN_SM_EEENSI_IJLi3ELi4EEEElEEEEESZ_NS_16tensor_operation12element_wise11PassThroughES13_12AlphaBetaAddLNS_25InMemoryDataOperationEnumE0ELi128ELi64ELi64ELi16ELi16ELi8ELi4ELi2ELi128ENSI_IJLi4ELi32ELi1EEEENSI_IJLi1ELi0ELi2EEEES17_Li2ELi8ELi8ELb0ELb1ELb1ES16_S17_S17_Li2ELi8ELi8ELb0ELb1ELb1ELi1ELi1ENSI_IJLi1ELi32ELi1ELi4EEEELi8ELi2ELNS_13LoopSchedulerE0ELNS_15PipelineVersionE0EEEaaNS2_IJPKaEEEaSU_SU_NS2_IJNS4_INS2_IJSA_SC_SC_NSD_INS2_IJiNS7_IiLi128EEEEEELb0EEENSD_INS2_IJiNS7_IiLi64EEEEEELb0EEEEEENS2_IJSJ_SK_SL_SN_SM_EEENS2_IJSP_SN_SM_SQ_NSI_IJLi7ELi8EEEEEEENSI_IJLi5ELi6ELi7ELi8EEEElEEEEES1Q_S13_S13_S14_NS_31BlockToCTileMap_M00_N0_M01AdaptILi128ELi64ESZ_iEELb0EEEvPKT0_PKT1_T2_PT3_T4_T5_T6_T7_T8_T9_T10_T11_
; %bb.0:
	s_clause 0x1
	s_load_b128 s[16:19], s[0:1], 0x114
	s_load_b32 s2, s[0:1], 0x124
	s_abs_i32 s9, s15
	s_mov_b32 s27, 0x31004000
	s_waitcnt lgkmcnt(0)
	s_add_i32 s3, s18, 0x7f
	s_add_i32 s4, s19, 63
	s_ashr_i32 s5, s3, 31
	s_ashr_i32 s6, s4, 31
	s_lshr_b32 s5, s5, 25
	s_lshr_b32 s6, s6, 26
	s_add_i32 s5, s3, s5
	s_add_i32 s4, s4, s6
	s_ashr_i32 s6, s5, 7
	s_ashr_i32 s3, s4, 6
	s_delay_alu instid0(SALU_CYCLE_1) | instskip(NEXT) | instid1(SALU_CYCLE_1)
	s_mul_i32 s4, s3, s6
	s_abs_i32 s4, s4
	s_delay_alu instid0(SALU_CYCLE_1) | instskip(SKIP_1) | instid1(VALU_DEP_1)
	v_cvt_f32_u32_e32 v1, s4
	s_sub_i32 s8, 0, s4
	v_rcp_iflag_f32_e32 v1, v1
	s_waitcnt_depctr 0xfff
	v_mul_f32_e32 v1, 0x4f7ffffe, v1
	s_delay_alu instid0(VALU_DEP_1) | instskip(NEXT) | instid1(VALU_DEP_1)
	v_cvt_u32_f32_e32 v1, v1
	v_readfirstlane_b32 s7, v1
	s_delay_alu instid0(VALU_DEP_1) | instskip(NEXT) | instid1(SALU_CYCLE_1)
	s_mul_i32 s8, s8, s7
	s_mul_hi_u32 s8, s7, s8
	s_delay_alu instid0(SALU_CYCLE_1) | instskip(SKIP_2) | instid1(SALU_CYCLE_1)
	s_add_i32 s7, s7, s8
	s_ashr_i32 s8, s15, 31
	s_mul_hi_u32 s7, s9, s7
	s_mul_i32 s7, s7, s4
	s_delay_alu instid0(SALU_CYCLE_1) | instskip(NEXT) | instid1(SALU_CYCLE_1)
	s_sub_i32 s7, s9, s7
	s_sub_i32 s9, s7, s4
	s_cmp_ge_u32 s7, s4
	s_cselect_b32 s7, s9, s7
	s_delay_alu instid0(SALU_CYCLE_1)
	s_sub_i32 s9, s7, s4
	s_cmp_ge_u32 s7, s4
	s_cselect_b32 s4, s9, s7
	s_abs_i32 s7, s3
	s_xor_b32 s4, s4, s8
	v_cvt_f32_u32_e32 v1, s7
	s_sub_i32 s10, 0, s7
	s_sub_i32 s4, s4, s8
	s_delay_alu instid0(VALU_DEP_1) | instskip(SKIP_2) | instid1(VALU_DEP_1)
	v_rcp_iflag_f32_e32 v1, v1
	s_waitcnt_depctr 0xfff
	v_mul_f32_e32 v1, 0x4f7ffffe, v1
	v_cvt_u32_f32_e32 v1, v1
	s_delay_alu instid0(VALU_DEP_1) | instskip(NEXT) | instid1(VALU_DEP_1)
	v_readfirstlane_b32 s9, v1
	s_mul_i32 s10, s10, s9
	s_delay_alu instid0(SALU_CYCLE_1) | instskip(SKIP_2) | instid1(SALU_CYCLE_1)
	s_mul_hi_u32 s8, s9, s10
	s_abs_i32 s10, s4
	s_add_i32 s9, s9, s8
	s_mul_hi_u32 s8, s10, s9
	s_xor_b32 s9, s4, s3
	s_mul_i32 s11, s8, s7
	s_ashr_i32 s9, s9, 31
	s_sub_i32 s10, s10, s11
	s_add_i32 s11, s8, 1
	s_sub_i32 s12, s10, s7
	s_cmp_ge_u32 s10, s7
	s_cselect_b32 s8, s11, s8
	s_cselect_b32 s10, s12, s10
	s_add_i32 s11, s8, 1
	s_cmp_ge_u32 s10, s7
	s_cselect_b32 s7, s11, s8
	s_abs_i32 s8, s2
	s_abs_i32 s12, s6
	v_cvt_f32_u32_e32 v1, s8
	s_sub_i32 s11, 0, s8
	s_xor_b32 s7, s7, s9
	s_ashr_i32 s5, s5, 31
	s_delay_alu instid0(VALU_DEP_1) | instskip(SKIP_2) | instid1(VALU_DEP_1)
	v_rcp_iflag_f32_e32 v1, v1
	s_waitcnt_depctr 0xfff
	v_mul_f32_e32 v1, 0x4f7ffffe, v1
	v_cvt_u32_f32_e32 v1, v1
	s_delay_alu instid0(VALU_DEP_1) | instskip(NEXT) | instid1(VALU_DEP_1)
	v_readfirstlane_b32 s10, v1
	s_mul_i32 s11, s11, s10
	s_delay_alu instid0(SALU_CYCLE_1) | instskip(NEXT) | instid1(SALU_CYCLE_1)
	s_mul_hi_u32 s11, s10, s11
	s_add_i32 s10, s10, s11
	s_delay_alu instid0(SALU_CYCLE_1) | instskip(NEXT) | instid1(SALU_CYCLE_1)
	s_mul_hi_u32 s11, s12, s10
	s_mul_i32 s11, s11, s8
	s_delay_alu instid0(SALU_CYCLE_1) | instskip(SKIP_4) | instid1(SALU_CYCLE_1)
	s_sub_i32 s11, s12, s11
	s_sub_i32 s12, s7, s9
	;; [unrolled: 1-line block ×3, first 2 shown]
	s_cmp_ge_u32 s11, s8
	s_cselect_b32 s7, s7, s11
	s_sub_i32 s9, s7, s8
	s_cmp_ge_u32 s7, s8
	s_cselect_b32 s7, s9, s7
	s_delay_alu instid0(SALU_CYCLE_1) | instskip(NEXT) | instid1(SALU_CYCLE_1)
	s_xor_b32 s7, s7, s5
	s_sub_i32 s5, s7, s5
	s_delay_alu instid0(SALU_CYCLE_1) | instskip(NEXT) | instid1(SALU_CYCLE_1)
	s_sub_i32 s6, s6, s5
	s_cmp_lt_i32 s12, s6
	s_mul_i32 s6, s12, s3
	s_cselect_b32 s13, s2, s5
	s_abs_i32 s2, s12
	s_sub_i32 s18, s4, s6
	s_mul_hi_u32 s5, s2, s10
	s_ashr_i32 s19, s12, 31
	s_mul_i32 s5, s5, s8
	s_delay_alu instid0(SALU_CYCLE_1) | instskip(NEXT) | instid1(SALU_CYCLE_1)
	s_sub_i32 s2, s2, s5
	s_sub_i32 s4, s2, s8
	s_cmp_ge_u32 s2, s8
	s_cselect_b32 s2, s4, s2
	s_delay_alu instid0(SALU_CYCLE_1)
	s_sub_i32 s4, s2, s8
	s_cmp_ge_u32 s2, s8
	s_cselect_b32 s20, s4, s2
	s_abs_i32 s15, s13
	s_xor_b32 s20, s20, s19
	v_cvt_f32_u32_e32 v1, s15
	s_clause 0x8
	s_load_b256 s[4:11], s[0:1], 0x0
	s_load_b32 s21, s[0:1], 0x28
	s_load_b32 s2, s[0:1], 0x88
	;; [unrolled: 1-line block ×8, first 2 shown]
	s_sub_i32 s0, s20, s19
	v_rcp_iflag_f32_e32 v1, v1
	s_sub_i32 s1, 0, s15
	s_mul_i32 s3, s0, s3
	s_delay_alu instid0(SALU_CYCLE_1) | instskip(NEXT) | instid1(SALU_CYCLE_1)
	s_add_i32 s3, s3, s18
	s_abs_i32 s18, s3
	s_xor_b32 s19, s3, s13
	s_delay_alu instid0(SALU_CYCLE_1) | instskip(SKIP_2) | instid1(VALU_DEP_1)
	s_ashr_i32 s19, s19, 31
	s_waitcnt_depctr 0xfff
	v_mul_f32_e32 v1, 0x4f7ffffe, v1
	v_cvt_u32_f32_e32 v1, v1
	s_waitcnt lgkmcnt(0)
	s_mov_b32 s24, s4
	s_mov_b32 s25, s5
	s_delay_alu instid0(VALU_DEP_1) | instskip(NEXT) | instid1(VALU_DEP_1)
	v_readfirstlane_b32 s23, v1
	s_mul_i32 s1, s1, s23
	s_delay_alu instid0(SALU_CYCLE_1) | instskip(NEXT) | instid1(SALU_CYCLE_1)
	s_mul_hi_u32 s1, s23, s1
	s_add_i32 s23, s23, s1
	s_delay_alu instid0(SALU_CYCLE_1) | instskip(NEXT) | instid1(SALU_CYCLE_1)
	s_mul_hi_u32 s1, s18, s23
	s_mul_i32 s20, s1, s15
	s_delay_alu instid0(SALU_CYCLE_1)
	s_sub_i32 s18, s18, s20
	s_add_i32 s20, s1, 1
	s_sub_i32 s23, s18, s15
	s_cmp_ge_u32 s18, s15
	s_cselect_b32 s1, s20, s1
	s_cselect_b32 s18, s23, s18
	s_add_i32 s20, s1, 1
	s_cmp_ge_u32 s18, s15
	s_mov_b32 s23, s27
	s_cselect_b32 s1, s20, s1
	s_sub_i32 s0, s12, s0
	s_xor_b32 s1, s1, s19
	s_mov_b32 s20, s8
	s_sub_i32 s1, s1, s19
	s_mov_b32 s15, s27
	s_lshl_b32 s12, s1, 6
	v_mov_b32_e32 v131, v0
	s_mul_i32 s13, s1, s13
	s_mov_b32 s1, s7
	s_sub_i32 s3, s3, s13
	s_delay_alu instid0(VALU_DEP_1) | instskip(SKIP_3) | instid1(VALU_DEP_1)
	v_lshrrev_b32_e32 v26, 1, v131
	s_add_i32 s13, s0, s3
	s_mov_b32 s3, s27
	s_lshl_b32 s0, s13, 7
	v_and_b32_e32 v37, 0x7e, v26
	s_delay_alu instid0(VALU_DEP_1) | instskip(SKIP_4) | instid1(VALU_DEP_4)
	v_add_nc_u32_e32 v2, s12, v37
	v_lshlrev_b32_e32 v25, 1, v131
	v_and_b32_e32 v34, 0xfc, v131
	v_lshlrev_b32_e32 v129, 3, v131
	v_lshrrev_b32_e32 v130, 7, v131
	v_and_b32_e32 v33, 6, v25
	s_delay_alu instid0(VALU_DEP_4) | instskip(SKIP_1) | instid1(VALU_DEP_2)
	v_add_nc_u32_e32 v3, s0, v34
	s_mov_b32 s0, s6
	v_lshlrev_b32_e32 v1, 3, v33
	s_delay_alu instid0(VALU_DEP_1)
	v_mad_u64_u32 v[13:14], null, v3, s21, v[1:2]
	v_mad_u64_u32 v[21:22], null, v2, s30, v[1:2]
	s_clause 0x1
	buffer_load_b128 v[1:4], v21, s[0:3], 0 offen
	buffer_load_b128 v[5:8], v21, s[0:3], 0 offen offset:64
	v_add_nc_u32_e32 v22, s21, v13
	buffer_load_b128 v[9:12], v13, s[24:27], 0 offen
	v_add_nc_u32_e32 v17, s21, v22
	v_add_nc_u32_e32 v38, 64, v22
	buffer_load_b64 v[23:24], v22, s[24:27], 0 offen
	v_add_nc_u32_e32 v27, s21, v17
	buffer_load_b128 v[17:20], v17, s[24:27], 0 offen
	v_add_nc_u32_e32 v39, s21, v38
	buffer_load_b128 v[13:16], v13, s[24:27], 0 offen offset:64
	v_add_nc_u32_e32 v21, s30, v21
	v_add_nc_u32_e32 v36, 8, v27
	s_clause 0x1
	buffer_load_b64 v[27:28], v27, s[24:27], 0 offen
	buffer_load_b128 v[29:32], v39, s[24:27], 0 offen
	v_add_nc_u32_e32 v35, 8, v22
	v_add_nc_u32_e32 v47, s21, v39
	;; [unrolled: 1-line block ×3, first 2 shown]
	s_clause 0x1
	buffer_load_b64 v[41:42], v35, s[24:27], 0 offen
	buffer_load_b64 v[43:44], v36, s[24:27], 0 offen
	s_clause 0x1
	buffer_load_b64 v[45:46], v21, s[0:3], 0 offen
	buffer_load_b64 v[35:36], v40, s[0:3], 0 offen
	v_add_nc_u32_e32 v22, 0x48, v22
	v_add_nc_u32_e32 v48, 0x48, v21
	;; [unrolled: 1-line block ×3, first 2 shown]
	s_mov_b32 s21, s9
	s_waitcnt vmcnt(10)
	v_mov_b32_e32 v76, v6
	v_dual_mov_b32 v58, v8 :: v_dual_mov_b32 v75, v5
	s_waitcnt vmcnt(7)
	v_dual_mov_b32 v57, v7 :: v_dual_mov_b32 v6, v20
	v_add_nc_u32_e32 v49, 8, v47
	s_waitcnt vmcnt(4)
	v_dual_mov_b32 v5, v19 :: v_dual_mov_b32 v54, v30
	s_clause 0x3
	buffer_load_b64 v[39:40], v38, s[24:27], 0 offen
	buffer_load_b64 v[55:56], v47, s[24:27], 0 offen
	;; [unrolled: 1-line block ×4, first 2 shown]
	s_clause 0x1
	buffer_load_b64 v[73:74], v21, s[0:3], 0 offen
	buffer_load_b64 v[59:60], v48, s[0:3], 0 offen
	s_mov_b32 s0, 0
	v_and_b32_e32 v21, 15, v131
	s_mov_b32 s7, s0
	v_bfe_u32 v22, v131, 1, 3
	s_mov_b32 s1, s0
	s_mov_b32 s2, s0
	;; [unrolled: 1-line block ×6, first 2 shown]
	v_dual_mov_b32 v161, s7 :: v_dual_lshlrev_b32 v34, 3, v34
	v_mov_b32_e32 v156, s2
	v_lshrrev_b32_e32 v38, 2, v131
	v_and_or_b32 v21, v26, 16, v21
	v_and_or_b32 v22, v129, 8, v22
	v_and_b32_e32 v25, 0x180, v25
	v_and_b32_e32 v26, 8, v26
	v_mov_b32_e32 v154, s0
	v_mad_u32_u24 v77, 0x408, v33, v34
	v_dual_mov_b32 v34, v4 :: v_dual_lshlrev_b32 v37, 3, v37
	v_lshlrev_b32_e32 v47, 3, v21
	v_lshl_or_b32 v93, v22, 3, v25
	v_and_or_b32 v22, v38, 16, v26
	v_lshlrev_b32_e32 v21, 2, v21
	v_mad_u32_u24 v78, 0x208, v33, v37
	v_add_nc_u32_e32 v79, 0x2000, v47
	v_add_nc_u32_e32 v80, 0x2800, v47
	;; [unrolled: 1-line block ×3, first 2 shown]
	v_lshl_or_b32 v153, v22, 7, v21
	v_mov_b32_e32 v33, v3
	v_mov_b32_e32 v3, v11
	v_dual_mov_b32 v21, v9 :: v_dual_mov_b32 v22, v10
	v_dual_mov_b32 v4, v12 :: v_dual_mov_b32 v25, v17
	v_dual_mov_b32 v26, v18 :: v_dual_add_nc_u32 v81, 0x2038, v78
	v_add_nc_u32_e32 v95, 0x1000, v93
	v_dual_mov_b32 v37, v13 :: v_dual_add_nc_u32 v0, 0x1800, v93
	ds_store_b128 v77, v[21:24]
	ds_store_b128 v77, v[25:28] offset:16
	s_waitcnt vmcnt(9)
	ds_store_2addr_b64 v77, v[3:4], v[41:42] offset0:129 offset1:130
	s_waitcnt vmcnt(8)
	ds_store_2addr_b64 v77, v[5:6], v[43:44] offset0:131 offset1:132
	s_waitcnt vmcnt(7)
	ds_store_2addr_b64 v81, v[1:2], v[45:46] offset1:1
	s_waitcnt vmcnt(6)
	ds_store_b128 v78, v[33:36] offset:8768
	s_waitcnt vmcnt(0) lgkmcnt(0)
	s_barrier
	ds_load_2addr_b64 v[1:4], v79 offset0:7 offset1:39
	ds_load_2addr_b64 v[61:64], v79 offset0:72 offset1:104
	ds_load_2addr_b64 v[65:68], v93 offset1:32
	ds_load_2addr_b64 v[5:8], v93 offset0:129 offset1:161
	ds_load_2addr_b64 v[9:12], v93 offset0:64 offset1:96
	;; [unrolled: 1-line block ×18, first 2 shown]
	v_dual_mov_b32 v38, v14 :: v_dual_mov_b32 v53, v29
	v_dual_mov_b32 v13, v15 :: v_dual_mov_b32 v14, v16
	;; [unrolled: 1-line block ×5, first 2 shown]
	s_waitcnt lgkmcnt(9)
	v_dual_mov_b32 v92, v118 :: v_dual_mov_b32 v155, s1
	v_mov_b32_e32 v90, v189
	s_waitcnt lgkmcnt(6)
	v_mov_b32_e32 v102, v201
	v_bfe_u32 v131, v131, 2, 5
	s_lshl_b32 s1, s28, 5
	s_lshl_b32 s0, s29, 5
	s_waitcnt lgkmcnt(5)
	v_mov_b32_e32 v104, v114
	s_waitcnt lgkmcnt(4)
	v_mov_b32_e32 v240, v206
	s_waitcnt lgkmcnt(0)
	scratch_store_b128 off, v[17:20], off offset:16 ; 16-byte Folded Spill
	ds_load_2addr_b64 v[49:52], v95 offset0:197 offset1:229
	ds_load_2addr_b64 v[17:20], v0 offset0:70 offset1:102
	;; [unrolled: 1-line block ×3, first 2 shown]
	v_mov_b32_e32 v206, v208
	v_mov_b32_e32 v118, v191
	;; [unrolled: 1-line block ×4, first 2 shown]
	s_waitcnt lgkmcnt(1)
	scratch_store_b128 off, v[17:20], off   ; 16-byte Folded Spill
	s_waitcnt lgkmcnt(0)
	s_waitcnt_vscnt null, 0x0
	s_barrier
	ds_store_b128 v77, v[37:40]
	ds_store_b128 v77, v[53:56] offset:16
	ds_store_2addr_b64 v77, v[13:14], v[69:70] offset0:129 offset1:130
	ds_store_2addr_b64 v77, v[15:16], v[71:72] offset0:131 offset1:132
	ds_store_2addr_b64 v81, v[75:76], v[73:74] offset1:1
	ds_store_b128 v78, v[57:60] offset:8768
	s_waitcnt lgkmcnt(0)
	s_barrier
	v_mov_b32_e32 v56, v62
	v_mov_b32_e32 v16, v8
	;; [unrolled: 1-line block ×6, first 2 shown]
	ds_load_2addr_b64 v[212:215], v79 offset0:7 offset1:39
	ds_load_2addr_b64 v[97:100], v79 offset0:72 offset1:104
	ds_load_2addr_b64 v[216:219], v79 offset0:137 offset1:169
	ds_load_2addr_b64 v[81:84], v79 offset0:202 offset1:234
	ds_load_2addr_b64 v[220:223], v80 offset0:11 offset1:43
	ds_load_2addr_b64 v[73:76], v80 offset0:76 offset1:108
	ds_load_2addr_b64 v[224:227], v80 offset0:141 offset1:173
	ds_load_2addr_b64 v[69:72], v80 offset0:206 offset1:238
	ds_load_2addr_b64 v[228:231], v93 offset1:32
	ds_load_2addr_b64 v[232:235], v94 offset0:2 offset1:34
	ds_load_2addr_b64 v[236:239], v95 offset0:4 offset1:36
	;; [unrolled: 1-line block ×3, first 2 shown]
	v_dual_mov_b32 v53, v1 :: v_dual_mov_b32 v54, v2
	v_mov_b32_e32 v55, v61
	v_dual_mov_b32 v13, v67 :: v_dual_mov_b32 v14, v68
	v_mov_b32_e32 v15, v7
	v_mov_b32_e32 v7, v9
	;; [unrolled: 1-line block ×5, first 2 shown]
	v_dual_mov_b32 v67, v5 :: v_dual_mov_b32 v68, v6
	v_dual_mov_b32 v77, v176 :: v_dual_mov_b32 v78, v177
	v_mov_b32_e32 v89, v188
	s_waitcnt lgkmcnt(5)
	v_dual_mov_b32 v101, v200 :: v_dual_mov_b32 v58, v225
	v_dual_mov_b32 v188, v182 :: v_dual_mov_b32 v189, v183
	v_mov_b32_e32 v200, v194
	v_mov_b32_e32 v182, v184
	s_waitcnt lgkmcnt(3)
	v_dual_mov_b32 v184, v230 :: v_dual_mov_b32 v183, v185
	v_mov_b32_e32 v194, v196
	v_wmma_i32_16x16x16_iu8 v[162:169], v[13:16], v[61:64], v[154:161] neg_lo:[1,1,0]
	v_wmma_i32_16x16x16_iu8 v[17:24], v[7:10], v[61:64], v[154:161] neg_lo:[1,1,0]
	;; [unrolled: 1-line block ×8, first 2 shown]
	v_mov_b32_e32 v66, v213
	s_waitcnt lgkmcnt(0)
	v_mov_b32_e32 v213, v245
	ds_load_2addr_b64 v[41:44], v0 offset0:135 offset1:167
	v_mov_b32_e32 v65, v212
	v_mov_b32_e32 v212, v244
	ds_load_2addr_b64 v[244:247], v93 offset0:129 offset1:161
	ds_load_2addr_b64 v[248:251], v94 offset0:131 offset1:163
	v_dual_mov_b32 v79, v121 :: v_dual_mov_b32 v64, v82
	v_mov_b32_e32 v80, v122
	ds_load_2addr_b64 v[252:255], v95 offset0:133 offset1:165
	v_dual_mov_b32 v91, v117 :: v_dual_mov_b32 v56, v74
	v_dual_mov_b32 v201, v195 :: v_dual_mov_b32 v196, v234
	v_mov_b32_e32 v195, v197
	v_mov_b32_e32 v62, v217
	v_wmma_i32_16x16x16_iu8 v[154:161], v[180:183], v[77:80], v[154:161] neg_lo:[1,1,0]
	v_dual_mov_b32 v103, v113 :: v_dual_mov_b32 v60, v70
	v_dual_mov_b32 v241, v207 :: v_dual_mov_b32 v208, v238
	v_mov_b32_e32 v207, v209
	v_mov_b32_e32 v54, v221
	s_waitcnt lgkmcnt(2)
	v_dual_mov_b32 v67, v97 :: v_dual_mov_b32 v230, v244
	v_wmma_i32_16x16x16_iu8 v[154:161], v[192:195], v[89:92], v[154:161] neg_lo:[1,1,0]
	v_dual_mov_b32 v68, v98 :: v_dual_mov_b32 v185, v231
	s_waitcnt lgkmcnt(1)
	v_dual_mov_b32 v231, v245 :: v_dual_mov_b32 v234, v248
	s_delay_alu instid0(VALU_DEP_3)
	v_wmma_i32_16x16x16_iu8 v[154:161], v[204:207], v[101:104], v[154:161] neg_lo:[1,1,0]
	v_mov_b32_e32 v244, v41
	ds_load_2addr_b64 v[149:152], v93 offset0:64 offset1:96
	ds_load_2addr_b64 v[109:112], v93 offset0:193 offset1:225
	;; [unrolled: 1-line block ×8, first 2 shown]
	v_and_b32_e32 v129, 24, v129
	v_lshlrev_b32_e32 v0, 10, v130
	v_lshlrev_b32_e32 v41, 5, v131
	v_dual_mov_b32 v61, v216 :: v_dual_mov_b32 v122, v179
	s_waitcnt lgkmcnt(8)
	v_dual_mov_b32 v63, v81 :: v_dual_mov_b32 v238, v252
	v_wmma_i32_16x16x16_iu8 v[154:161], v[228:231], v[65:68], v[154:161] neg_lo:[1,1,0]
	v_mov_b32_e32 v113, v202
	v_mov_b32_e32 v202, v198
	v_or3_b32 v0, v41, v0, v129
	v_mov_b32_e32 v197, v235
	v_mov_b32_e32 v235, v249
	;; [unrolled: 1-line block ×3, first 2 shown]
	v_dual_mov_b32 v55, v73 :: v_dual_mov_b32 v98, v215
	v_dual_mov_b32 v209, v239 :: v_dual_add_nc_u32 v130, s13, v130
	v_mov_b32_e32 v239, v253
	v_wmma_i32_16x16x16_iu8 v[154:161], v[232:235], v[61:64], v[154:161] neg_lo:[1,1,0]
	v_dual_mov_b32 v57, v224 :: v_dual_mov_b32 v82, v219
	v_dual_mov_b32 v59, v69 :: v_dual_mov_b32 v74, v223
	v_mov_b32_e32 v245, v42
	s_delay_alu instid0(VALU_DEP_4)
	v_wmma_i32_16x16x16_iu8 v[154:161], v[236:239], v[53:56], v[154:161] neg_lo:[1,1,0]
	v_lshlrev_b32_e32 v0, 2, v0
	s_waitcnt lgkmcnt(0)
	s_barrier
	v_lshl_or_b32 v130, v130, 7, v131
	v_wmma_i32_16x16x16_iu8 v[154:161], v[242:245], v[57:60], v[154:161] neg_lo:[1,1,0]
	ds_store_2addr_b32 v153, v154, v155 offset1:32
	ds_store_2addr_b32 v153, v156, v157 offset0:64 offset1:96
	ds_store_2addr_b32 v153, v158, v159 offset0:128 offset1:160
	;; [unrolled: 1-line block ×3, first 2 shown]
	s_waitcnt lgkmcnt(0)
	s_barrier
	ds_load_b128 v[154:157], v0
	ds_load_b128 v[158:161], v0 offset:16
	v_mov_b32_e32 v121, v178
	v_mov_b32_e32 v117, v190
	;; [unrolled: 1-line block ×4, first 2 shown]
	v_dual_mov_b32 v73, v222 :: v_dual_mov_b32 v214, v43
	v_wmma_i32_16x16x16_iu8 v[170:177], v[180:183], v[121:124], v[170:177] neg_lo:[1,1,0]
	v_mov_b32_e32 v70, v227
	s_mov_b32 s13, s11
	v_mov_b32_e32 v199, v251
	v_mov_b32_e32 v215, v44
	v_wmma_i32_16x16x16_iu8 v[170:177], v[192:195], v[117:120], v[170:177] neg_lo:[1,1,0]
	v_mov_b32_e32 v198, v250
	s_delay_alu instid0(VALU_DEP_2)
	v_wmma_i32_16x16x16_iu8 v[170:177], v[204:207], v[113:116], v[170:177] neg_lo:[1,1,0]
	s_waitcnt lgkmcnt(1)
	v_mul_lo_u32 v41, v154, s16
	v_mul_lo_u32 v154, v156, s16
	s_waitcnt lgkmcnt(0)
	v_mul_lo_u32 v156, v158, s16
	v_mul_lo_u32 v158, v160, s16
	v_or_b32_e32 v160, s12, v129
	v_mul_lo_u32 v42, v155, s16
	v_mul_lo_u32 v155, v157, s16
	;; [unrolled: 1-line block ×4, first 2 shown]
	v_mad_u64_u32 v[178:179], null, v130, s29, v[160:161]
	s_mov_b32 s12, s10
	buffer_load_b64 v[179:180], v178, s[20:23], 0 offen
	s_waitcnt vmcnt(0)
	v_mad_u64_u32 v[181:182], null, v179, s17, v[41:42]
	v_lshrrev_b32_e32 v41, 8, v179
	v_lshrrev_b32_e32 v132, 8, v180
	;; [unrolled: 1-line block ×3, first 2 shown]
	v_mad_u64_u32 v[182:183], null, v180, s17, v[156:157]
	v_lshrrev_b32_e32 v183, 24, v180
	v_lshrrev_b32_e32 v129, 16, v179
	;; [unrolled: 1-line block ×3, first 2 shown]
	v_mad_u64_u32 v[179:180], null, v41, s17, v[42:43]
	v_mad_u64_u32 v[41:42], null, v132, s17, v[157:158]
	;; [unrolled: 1-line block ×4, first 2 shown]
	v_and_b32_e32 v42, 0xff, v182
	v_wmma_i32_16x16x16_iu8 v[170:177], v[228:231], v[97:100], v[170:177] neg_lo:[1,1,0]
	v_mad_u64_u32 v[190:191], null, v129, s17, v[154:155]
	v_mad_u64_u32 v[158:159], null, v131, s17, v[155:156]
	v_lshlrev_b16 v41, 8, v41
	v_lshlrev_b16 v131, 8, v157
	v_and_b32_e32 v132, 0xff, v156
	v_wmma_i32_16x16x16_iu8 v[170:177], v[232:235], v[81:84], v[170:177] neg_lo:[1,1,0]
	v_and_b32_e32 v129, 0xff, v181
	v_lshlrev_b16 v154, 8, v179
	v_lshlrev_b16 v155, 8, v158
	v_and_b32_e32 v156, 0xff, v190
	v_wmma_i32_16x16x16_iu8 v[170:177], v[236:239], v[73:76], v[170:177] neg_lo:[1,1,0]
	v_or_b32_e32 v41, v42, v41
	v_or_b32_e32 v42, v132, v131
	v_mad_u64_u32 v[179:180], null, v130, s28, v[160:161]
	v_mov_b32_e32 v69, v226
	v_or_b32_e32 v131, v156, v155
	s_delay_alu instid0(VALU_DEP_4)
	v_lshlrev_b32_e32 v42, 16, v42
	v_dual_mov_b32 v190, v186 :: v_dual_and_b32 v41, 0xffff, v41
	v_mov_b32_e32 v186, v246
	v_wmma_i32_16x16x16_iu8 v[170:177], v[242:245], v[69:72], v[170:177] neg_lo:[1,1,0]
	v_mov_b32_e32 v242, v210
	v_or_b32_e32 v129, v129, v154
	v_dual_mov_b32 v210, v254 :: v_dual_lshlrev_b32 v131, 16, v131
	v_or_b32_e32 v42, v41, v42
	v_mov_b32_e32 v191, v187
	s_delay_alu instid0(VALU_DEP_4) | instskip(SKIP_3) | instid1(VALU_DEP_4)
	v_and_b32_e32 v129, 0xffff, v129
	v_mov_b32_e32 v243, v211
	v_mov_b32_e32 v187, v247
	;; [unrolled: 1-line block ×3, first 2 shown]
	v_or_b32_e32 v41, v129, v131
	v_add_nc_u32_e32 v131, s0, v178
	buffer_store_b64 v[41:42], v179, s[12:15], 0 offen
	s_waitcnt lgkmcnt(0)
	s_waitcnt_vscnt null, 0x0
	s_barrier
	ds_store_2addr_b32 v153, v170, v171 offset1:32
	ds_store_2addr_b32 v153, v172, v173 offset0:64 offset1:96
	ds_store_2addr_b32 v153, v174, v175 offset0:128 offset1:160
	;; [unrolled: 1-line block ×3, first 2 shown]
	s_waitcnt lgkmcnt(0)
	s_barrier
	buffer_load_b64 v[41:42], v178, s[20:23], 0 offen offset:32
	ds_load_b128 v[154:157], v0
	ds_load_b128 v[158:161], v0 offset:16
	v_add_nc_u32_e32 v43, 32, v131
	v_dual_mov_b32 v175, v138 :: v_dual_mov_b32 v174, v137
	s_waitcnt lgkmcnt(1)
	v_mul_lo_u32 v154, v154, s16
	v_mul_lo_u32 v155, v155, s16
	s_waitcnt lgkmcnt(0)
	v_mul_lo_u32 v158, v158, s16
	v_mul_lo_u32 v159, v159, s16
	;; [unrolled: 1-line block ×6, first 2 shown]
	s_waitcnt vmcnt(0)
	v_mad_u64_u32 v[170:171], null, v41, s17, v[154:155]
	v_mad_u64_u32 v[171:172], null, v42, s17, v[158:159]
	v_lshrrev_b32_e32 v129, 8, v41
	v_lshrrev_b32_e32 v130, 16, v41
	;; [unrolled: 1-line block ×6, first 2 shown]
	v_mad_u64_u32 v[41:42], null, v129, s17, v[155:156]
	v_and_b32_e32 v42, 0xff, v171
	v_wmma_i32_16x16x16_iu8 v[162:169], v[188:191], v[121:124], v[162:169] neg_lo:[1,1,0]
	v_mad_u64_u32 v[154:155], null, v158, s17, v[159:160]
	v_mad_u64_u32 v[158:159], null, v172, s17, v[160:161]
	s_delay_alu instid0(VALU_DEP_3) | instskip(SKIP_3) | instid1(VALU_DEP_4)
	v_wmma_i32_16x16x16_iu8 v[162:169], v[200:203], v[117:120], v[162:169] neg_lo:[1,1,0]
	v_and_b32_e32 v129, 0xff, v170
	v_lshlrev_b16 v41, 8, v41
	v_mov_b32_e32 v170, v145
	v_wmma_i32_16x16x16_iu8 v[162:169], v[240:243], v[113:116], v[162:169] neg_lo:[1,1,0]
	s_delay_alu instid0(VALU_DEP_3) | instskip(NEXT) | instid1(VALU_DEP_2)
	v_or_b32_e32 v41, v129, v41
	v_mad_u64_u32 v[159:160], null, v173, s17, v[161:162]
	v_mad_u64_u32 v[172:173], null, v130, s17, v[156:157]
	v_lshlrev_b16 v130, 8, v154
	v_mad_u64_u32 v[160:161], null, v132, s17, v[157:158]
	v_and_b32_e32 v154, 0xff, v158
	v_lshlrev_b16 v132, 8, v159
	s_delay_alu instid0(VALU_DEP_4)
	v_or_b32_e32 v42, v42, v130
	v_and_b32_e32 v156, 0xff, v172
	v_dual_mov_b32 v172, v93 :: v_dual_and_b32 v41, 0xffff, v41
	v_lshlrev_b16 v155, 8, v160
	v_or_b32_e32 v130, v154, v132
	v_and_b32_e32 v42, 0xffff, v42
	v_wmma_i32_16x16x16_iu8 v[162:169], v[184:187], v[97:100], v[162:169] neg_lo:[1,1,0]
	v_add_nc_u32_e32 v132, s1, v179
	v_or_b32_e32 v129, v156, v155
	v_dual_mov_b32 v173, v94 :: v_dual_lshlrev_b32 v130, 16, v130
	s_delay_alu instid0(VALU_DEP_4) | instskip(NEXT) | instid1(VALU_DEP_3)
	v_wmma_i32_16x16x16_iu8 v[162:169], v[196:199], v[81:84], v[162:169] neg_lo:[1,1,0]
	v_lshlrev_b32_e32 v129, 16, v129
	s_delay_alu instid0(VALU_DEP_3) | instskip(NEXT) | instid1(VALU_DEP_3)
	v_or_b32_e32 v42, v42, v130
	v_wmma_i32_16x16x16_iu8 v[162:169], v[208:211], v[73:76], v[162:169] neg_lo:[1,1,0]
	s_delay_alu instid0(VALU_DEP_3) | instskip(NEXT) | instid1(VALU_DEP_2)
	v_or_b32_e32 v41, v41, v129
	v_wmma_i32_16x16x16_iu8 v[162:169], v[212:215], v[69:72], v[162:169] neg_lo:[1,1,0]
	buffer_store_b64 v[41:42], v179, s[12:15], 0 offen offset:32
	s_waitcnt lgkmcnt(0)
	s_waitcnt_vscnt null, 0x0
	s_barrier
	ds_store_2addr_b32 v153, v162, v163 offset1:32
	ds_store_2addr_b32 v153, v164, v165 offset0:64 offset1:96
	ds_store_2addr_b32 v153, v166, v167 offset0:128 offset1:160
	;; [unrolled: 1-line block ×3, first 2 shown]
	s_waitcnt lgkmcnt(0)
	s_barrier
	v_mov_b32_e32 v166, v141
	buffer_load_b64 v[158:159], v43, s[20:23], 0 offen
	ds_load_b128 v[41:44], v0
	ds_load_b128 v[154:157], v0 offset:16
	v_mov_b32_e32 v168, v105
	s_waitcnt lgkmcnt(1)
	v_mul_lo_u32 v41, v41, s16
	v_mul_lo_u32 v42, v42, s16
	s_waitcnt lgkmcnt(0)
	v_mul_lo_u32 v154, v154, s16
	v_mul_lo_u32 v155, v155, s16
	;; [unrolled: 1-line block ×6, first 2 shown]
	s_waitcnt vmcnt(0)
	v_mad_u64_u32 v[160:161], null, v158, s17, v[41:42]
	v_lshrrev_b32_e32 v41, 8, v158
	v_mad_u64_u32 v[161:162], null, v159, s17, v[154:155]
	v_lshrrev_b32_e32 v129, 16, v158
	v_lshrrev_b32_e32 v130, 24, v158
	;; [unrolled: 1-line block ×5, first 2 shown]
	v_mad_u64_u32 v[158:159], null, v41, s17, v[42:43]
	s_delay_alu instid0(VALU_DEP_4) | instskip(NEXT) | instid1(VALU_DEP_4)
	v_mad_u64_u32 v[41:42], null, v154, s17, v[155:156]
	v_mad_u64_u32 v[154:155], null, v162, s17, v[156:157]
	v_and_b32_e32 v42, 0xff, v161
	v_wmma_i32_16x16x16_iu8 v[33:40], v[188:191], v[77:80], v[33:40] neg_lo:[1,1,0]
	v_mad_u64_u32 v[155:156], null, v163, s17, v[157:158]
	v_mad_u64_u32 v[156:157], null, v130, s17, v[44:45]
	;; [unrolled: 1-line block ×3, first 2 shown]
	v_lshlrev_b16 v41, 8, v41
	v_and_b32_e32 v129, 0xff, v154
	v_lshlrev_b16 v44, 8, v155
	v_and_b32_e32 v43, 0xff, v160
	v_lshlrev_b16 v154, 8, v156
	v_or_b32_e32 v41, v42, v41
	v_and_b32_e32 v155, 0xff, v162
	v_or_b32_e32 v42, v129, v44
	v_lshlrev_b16 v130, 8, v158
	v_add_nc_u32_e32 v129, 32, v132
	v_and_b32_e32 v41, 0xffff, v41
	v_or_b32_e32 v44, v155, v154
	v_lshlrev_b32_e32 v42, 16, v42
	v_wmma_i32_16x16x16_iu8 v[33:40], v[200:203], v[89:92], v[33:40] neg_lo:[1,1,0]
	v_or_b32_e32 v43, v43, v130
	v_mov_b32_e32 v160, v109
	v_lshlrev_b32_e32 v44, 16, v44
	v_or_b32_e32 v42, v41, v42
	v_wmma_i32_16x16x16_iu8 v[33:40], v[240:243], v[101:104], v[33:40] neg_lo:[1,1,0]
	v_and_b32_e32 v43, 0xffff, v43
	v_dual_mov_b32 v161, v110 :: v_dual_mov_b32 v158, v149
	v_mov_b32_e32 v159, v150
	s_delay_alu instid0(VALU_DEP_4) | instskip(NEXT) | instid1(VALU_DEP_4)
	v_wmma_i32_16x16x16_iu8 v[33:40], v[184:187], v[65:68], v[33:40] neg_lo:[1,1,0]
	v_or_b32_e32 v41, v43, v44
	s_delay_alu instid0(VALU_DEP_2)
	v_wmma_i32_16x16x16_iu8 v[33:40], v[196:199], v[61:64], v[33:40] neg_lo:[1,1,0]
	buffer_store_b64 v[41:42], v129, s[12:15], 0 offen
	s_waitcnt lgkmcnt(0)
	s_waitcnt_vscnt null, 0x0
	s_barrier
	v_wmma_i32_16x16x16_iu8 v[33:40], v[208:211], v[53:56], v[33:40] neg_lo:[1,1,0]
	s_delay_alu instid0(VALU_DEP_1)
	v_wmma_i32_16x16x16_iu8 v[33:40], v[212:215], v[57:60], v[33:40] neg_lo:[1,1,0]
	ds_store_2addr_b32 v153, v33, v34 offset1:32
	ds_store_2addr_b32 v153, v35, v36 offset0:64 offset1:96
	ds_store_2addr_b32 v153, v37, v38 offset0:128 offset1:160
	;; [unrolled: 1-line block ×3, first 2 shown]
	s_waitcnt lgkmcnt(0)
	s_barrier
	s_clause 0x1
	scratch_load_b128 v[37:40], off, off offset:16
	scratch_load_b128 v[41:44], off, off
	v_mov_b32_e32 v34, v134
	buffer_load_b64 v[176:177], v131, s[20:23], 0 offen
	ds_load_b128 v[154:157], v0
	ds_load_b128 v[162:165], v0 offset:16
	v_dual_mov_b32 v35, v125 :: v_dual_mov_b32 v36, v126
	s_waitcnt lgkmcnt(1)
	v_mul_lo_u32 v93, v157, s16
	s_waitcnt lgkmcnt(0)
	v_mul_lo_u32 v94, v163, s16
	v_mul_lo_u32 v105, v164, s16
	s_waitcnt vmcnt(2)
	v_mov_b32_e32 v181, v40
	s_waitcnt vmcnt(1)
	v_dual_mov_b32 v179, v44 :: v_dual_mov_b32 v180, v39
	v_mov_b32_e32 v40, v50
	v_dual_mov_b32 v178, v43 :: v_dual_mov_b32 v43, v45
	v_mov_b32_e32 v44, v46
	v_mul_lo_u32 v45, v154, s16
	v_mul_lo_u32 v46, v155, s16
	;; [unrolled: 1-line block ×3, first 2 shown]
	v_mov_b32_e32 v39, v49
	v_mov_b32_e32 v169, v106
	v_mul_lo_u32 v49, v156, s16
	v_mul_lo_u32 v106, v165, s16
	s_waitcnt vmcnt(0)
	v_lshrrev_b32_e32 v137, 16, v177
	v_lshrrev_b32_e32 v141, 24, v177
	v_mad_u64_u32 v[109:110], null, v176, s17, v[45:46]
	v_mad_u64_u32 v[125:126], null, v177, s17, v[50:51]
	v_lshrrev_b32_e32 v45, 8, v176
	v_lshrrev_b32_e32 v50, 16, v176
	;; [unrolled: 1-line block ×4, first 2 shown]
	v_mov_b32_e32 v33, v133
	v_mad_u64_u32 v[129:130], null, v45, s17, v[46:47]
	v_mad_u64_u32 v[133:134], null, v137, s17, v[105:106]
	s_delay_alu instid0(VALU_DEP_4)
	v_mad_u64_u32 v[45:46], null, v126, s17, v[94:95]
	v_and_b32_e32 v46, 0xff, v125
	v_mad_u64_u32 v[137:138], null, v141, s17, v[106:107]
	v_mad_u64_u32 v[105:106], null, v110, s17, v[93:94]
	v_mad_u64_u32 v[93:94], null, v50, s17, v[49:50]
	v_lshlrev_b16 v45, 8, v45
	v_and_b32_e32 v94, 0xff, v133
	v_lshlrev_b16 v50, 8, v137
	v_wmma_i32_16x16x16_iu8 v[25:32], v[33:36], v[77:80], v[25:32] neg_lo:[1,1,0]
	v_lshlrev_b16 v105, 8, v105
	v_and_b32_e32 v49, 0xff, v109
	v_and_b32_e32 v93, 0xff, v93
	v_lshlrev_b16 v106, 8, v129
	v_or_b32_e32 v45, v46, v45
	v_or_b32_e32 v46, v94, v50
	v_dual_mov_b32 v177, v86 :: v_dual_mov_b32 v86, v140
	v_or_b32_e32 v50, v93, v105
	v_mov_b32_e32 v94, v148
	v_or_b32_e32 v49, v49, v106
	v_and_b32_e32 v45, 0xffff, v45
	v_lshlrev_b32_e32 v46, 16, v46
	v_lshlrev_b32_e32 v50, 16, v50
	v_wmma_i32_16x16x16_iu8 v[25:32], v[37:40], v[89:92], v[25:32] neg_lo:[1,1,0]
	v_and_b32_e32 v49, 0xffff, v49
	v_mov_b32_e32 v171, v146
	v_or_b32_e32 v46, v45, v46
	v_mov_b32_e32 v176, v85
	v_wmma_i32_16x16x16_iu8 v[25:32], v[41:44], v[101:104], v[25:32] neg_lo:[1,1,0]
	v_or_b32_e32 v45, v49, v50
	v_add_nc_u32_e32 v49, s0, v131
	v_dual_mov_b32 v167, v142 :: v_dual_mov_b32 v50, v181
	s_delay_alu instid0(VALU_DEP_4)
	v_wmma_i32_16x16x16_iu8 v[25:32], v[158:161], v[65:68], v[25:32] neg_lo:[1,1,0]
	v_mov_b32_e32 v110, v152
	v_mov_b32_e32 v106, v144
	buffer_store_b64 v[45:46], v132, s[12:15], 0 offen
	s_waitcnt lgkmcnt(0)
	v_wmma_i32_16x16x16_iu8 v[25:32], v[166:169], v[61:64], v[25:32] neg_lo:[1,1,0]
	s_waitcnt_vscnt null, 0x0
	s_barrier
	v_wmma_i32_16x16x16_iu8 v[17:24], v[33:36], v[121:124], v[17:24] neg_lo:[1,1,0]
	v_dual_mov_b32 v126, v136 :: v_dual_mov_b32 v109, v151
	v_wmma_i32_16x16x16_iu8 v[25:32], v[170:173], v[53:56], v[25:32] neg_lo:[1,1,0]
	v_mov_b32_e32 v105, v143
	s_delay_alu instid0(VALU_DEP_4)
	v_wmma_i32_16x16x16_iu8 v[17:24], v[37:40], v[117:120], v[17:24] neg_lo:[1,1,0]
	v_mov_b32_e32 v93, v147
	v_mov_b32_e32 v85, v139
	v_wmma_i32_16x16x16_iu8 v[25:32], v[174:177], v[57:60], v[25:32] neg_lo:[1,1,0]
	ds_store_2addr_b32 v153, v25, v26 offset1:32
	ds_store_2addr_b32 v153, v27, v28 offset0:64 offset1:96
	ds_store_2addr_b32 v153, v29, v30 offset0:128 offset1:160
	;; [unrolled: 1-line block ×3, first 2 shown]
	s_waitcnt lgkmcnt(0)
	s_barrier
	buffer_load_b64 v[45:46], v49, s[20:23], 0 offen
	ds_load_b128 v[25:28], v0
	ds_load_b128 v[29:32], v0 offset:16
	s_waitcnt lgkmcnt(1)
	v_mul_lo_u32 v25, v25, s16
	v_mul_lo_u32 v26, v26, s16
	s_waitcnt lgkmcnt(0)
	v_mul_lo_u32 v29, v29, s16
	v_mul_lo_u32 v30, v30, s16
	v_mul_lo_u32 v27, v27, s16
	v_mul_lo_u32 v31, v31, s16
	v_mul_lo_u32 v32, v32, s16
	v_mul_lo_u32 v28, v28, s16
	s_waitcnt vmcnt(0)
	v_mad_u64_u32 v[33:34], null, v45, s17, v[25:26]
	v_mad_u64_u32 v[34:35], null, v46, s17, v[29:30]
	v_lshrrev_b32_e32 v25, 8, v45
	v_lshrrev_b32_e32 v29, 8, v46
	;; [unrolled: 1-line block ×5, first 2 shown]
	v_mad_u64_u32 v[35:36], null, v25, s17, v[26:27]
	v_mad_u64_u32 v[25:26], null, v29, s17, v[30:31]
	;; [unrolled: 1-line block ×3, first 2 shown]
	v_lshrrev_b32_e32 v37, 24, v45
	v_mad_u64_u32 v[30:31], null, v40, s17, v[32:33]
	v_and_b32_e32 v26, 0xff, v34
	v_lshlrev_b16 v25, 8, v25
	v_mov_b32_e32 v46, v179
	v_mad_u64_u32 v[31:32], null, v37, s17, v[28:29]
	v_mad_u64_u32 v[36:37], null, v38, s17, v[27:28]
	v_lshlrev_b16 v28, 8, v30
	v_and_b32_e32 v29, 0xff, v29
	v_or_b32_e32 v25, v26, v25
	v_and_b32_e32 v27, 0xff, v33
	v_lshlrev_b16 v31, 8, v31
	v_lshlrev_b16 v30, 8, v35
	v_and_b32_e32 v32, 0xff, v36
	v_wmma_i32_16x16x16_iu8 v[17:24], v[41:44], v[113:116], v[17:24] neg_lo:[1,1,0]
	v_or_b32_e32 v26, v29, v28
	v_and_b32_e32 v25, 0xffff, v25
	v_or_b32_e32 v27, v27, v30
	v_or_b32_e32 v28, v32, v31
	v_add_nc_u32_e32 v32, s0, v49
	v_lshlrev_b32_e32 v26, 16, v26
	v_add_nc_u32_e32 v31, s1, v132
	v_and_b32_e32 v27, 0xffff, v27
	v_lshlrev_b32_e32 v28, 16, v28
	v_wmma_i32_16x16x16_iu8 v[17:24], v[158:161], v[97:100], v[17:24] neg_lo:[1,1,0]
	v_or_b32_e32 v26, v25, v26
	s_delay_alu instid0(VALU_DEP_3) | instskip(NEXT) | instid1(VALU_DEP_3)
	v_or_b32_e32 v25, v27, v28
	v_wmma_i32_16x16x16_iu8 v[17:24], v[166:169], v[81:84], v[17:24] neg_lo:[1,1,0]
	buffer_store_b64 v[25:26], v31, s[12:15], 0 offen
	v_wmma_i32_16x16x16_iu8 v[17:24], v[170:173], v[73:76], v[17:24] neg_lo:[1,1,0]
	s_waitcnt lgkmcnt(0)
	s_waitcnt_vscnt null, 0x0
	s_barrier
	s_delay_alu instid0(VALU_DEP_1)
	v_wmma_i32_16x16x16_iu8 v[17:24], v[174:177], v[69:72], v[17:24] neg_lo:[1,1,0]
	ds_store_2addr_b32 v153, v17, v18 offset1:32
	ds_store_2addr_b32 v153, v19, v20 offset0:64 offset1:96
	ds_store_2addr_b32 v153, v21, v22 offset0:128 offset1:160
	;; [unrolled: 1-line block ×3, first 2 shown]
	s_waitcnt lgkmcnt(0)
	s_barrier
	buffer_load_b64 v[25:26], v49, s[20:23], 0 offen offset:32
	ds_load_b128 v[17:20], v0
	ds_load_b128 v[21:24], v0 offset:16
	s_waitcnt lgkmcnt(1)
	v_mul_lo_u32 v17, v17, s16
	v_mul_lo_u32 v18, v18, s16
	s_waitcnt lgkmcnt(0)
	v_mul_lo_u32 v21, v21, s16
	v_mul_lo_u32 v22, v22, s16
	;; [unrolled: 1-line block ×6, first 2 shown]
	s_waitcnt vmcnt(0)
	v_mad_u64_u32 v[27:28], null, v25, s17, v[17:18]
	v_lshrrev_b32_e32 v17, 8, v25
	v_mad_u64_u32 v[28:29], null, v26, s17, v[21:22]
	v_lshrrev_b32_e32 v33, 16, v25
	v_lshrrev_b32_e32 v29, 24, v25
	;; [unrolled: 1-line block ×5, first 2 shown]
	v_mad_u64_u32 v[25:26], null, v17, s17, v[18:19]
	s_delay_alu instid0(VALU_DEP_4) | instskip(NEXT) | instid1(VALU_DEP_4)
	v_mad_u64_u32 v[17:18], null, v21, s17, v[22:23]
	v_mad_u64_u32 v[21:22], null, v30, s17, v[23:24]
	v_and_b32_e32 v18, 0xff, v28
	s_delay_alu instid0(VALU_DEP_4) | instskip(NEXT) | instid1(VALU_DEP_4)
	v_mad_u64_u32 v[22:23], null, v34, s17, v[24:25]
	v_lshlrev_b16 v17, 8, v17
	s_delay_alu instid0(VALU_DEP_4)
	v_mad_u64_u32 v[23:24], null, v29, s17, v[20:21]
	v_mad_u64_u32 v[29:30], null, v33, s17, v[19:20]
	v_mov_b32_e32 v125, v135
	v_lshlrev_b16 v20, 8, v22
	v_and_b32_e32 v21, 0xff, v21
	v_or_b32_e32 v17, v18, v17
	v_lshlrev_b16 v23, 8, v23
	v_and_b32_e32 v19, 0xff, v27
	v_and_b32_e32 v24, 0xff, v29
	v_wmma_i32_16x16x16_iu8 v[9:16], v[125:128], v[121:124], v[9:16] neg_lo:[1,1,0]
	v_or_b32_e32 v18, v21, v20
	v_mov_b32_e32 v49, v180
	v_lshlrev_b16 v22, 8, v25
	v_or_b32_e32 v20, v24, v23
	s_delay_alu instid0(VALU_DEP_4) | instskip(NEXT) | instid1(VALU_DEP_4)
	v_dual_mov_b32 v45, v178 :: v_dual_lshlrev_b32 v18, 16, v18
	v_wmma_i32_16x16x16_iu8 v[9:16], v[49:52], v[117:120], v[9:16] neg_lo:[1,1,0]
	s_delay_alu instid0(VALU_DEP_4) | instskip(NEXT) | instid1(VALU_DEP_4)
	v_or_b32_e32 v19, v19, v22
	v_lshlrev_b32_e32 v20, 16, v20
	v_and_b32_e32 v17, 0xffff, v17
	v_wmma_i32_16x16x16_iu8 v[1:8], v[125:128], v[77:80], v[1:8] neg_lo:[1,1,0]
	v_wmma_i32_16x16x16_iu8 v[9:16], v[45:48], v[113:116], v[9:16] neg_lo:[1,1,0]
	v_and_b32_e32 v19, 0xffff, v19
	v_add_nc_u32_e32 v23, s1, v31
	v_or_b32_e32 v18, v17, v18
	v_wmma_i32_16x16x16_iu8 v[1:8], v[49:52], v[89:92], v[1:8] neg_lo:[1,1,0]
	v_wmma_i32_16x16x16_iu8 v[9:16], v[109:112], v[97:100], v[9:16] neg_lo:[1,1,0]
	v_or_b32_e32 v17, v19, v20
	v_add_nc_u32_e32 v19, 32, v32
	s_delay_alu instid0(VALU_DEP_4) | instskip(NEXT) | instid1(VALU_DEP_4)
	v_wmma_i32_16x16x16_iu8 v[1:8], v[45:48], v[101:104], v[1:8] neg_lo:[1,1,0]
	v_wmma_i32_16x16x16_iu8 v[9:16], v[105:108], v[81:84], v[9:16] neg_lo:[1,1,0]
	buffer_store_b64 v[17:18], v31, s[12:15], 0 offen offset:32
	s_waitcnt lgkmcnt(0)
	s_waitcnt_vscnt null, 0x0
	s_barrier
	v_wmma_i32_16x16x16_iu8 v[9:16], v[93:96], v[73:76], v[9:16] neg_lo:[1,1,0]
	s_delay_alu instid0(VALU_DEP_1)
	v_wmma_i32_16x16x16_iu8 v[9:16], v[85:88], v[69:72], v[9:16] neg_lo:[1,1,0]
	ds_store_2addr_b32 v153, v9, v10 offset1:32
	ds_store_2addr_b32 v153, v11, v12 offset0:64 offset1:96
	ds_store_2addr_b32 v153, v13, v14 offset0:128 offset1:160
	;; [unrolled: 1-line block ×3, first 2 shown]
	s_waitcnt lgkmcnt(0)
	s_barrier
	buffer_load_b64 v[17:18], v19, s[20:23], 0 offen
	ds_load_b128 v[9:12], v0
	ds_load_b128 v[13:16], v0 offset:16
	s_waitcnt lgkmcnt(1)
	v_mul_lo_u32 v9, v9, s16
	v_mul_lo_u32 v10, v10, s16
	s_waitcnt lgkmcnt(0)
	v_mul_lo_u32 v13, v13, s16
	v_mul_lo_u32 v14, v14, s16
	;; [unrolled: 1-line block ×6, first 2 shown]
	s_waitcnt vmcnt(0)
	v_mad_u64_u32 v[19:20], null, v17, s17, v[9:10]
	v_lshrrev_b32_e32 v9, 8, v17
	v_mad_u64_u32 v[20:21], null, v18, s17, v[13:14]
	v_lshrrev_b32_e32 v13, 8, v18
	v_lshrrev_b32_e32 v21, 16, v18
	;; [unrolled: 1-line block ×5, first 2 shown]
	v_mad_u64_u32 v[17:18], null, v9, s17, v[10:11]
	v_mad_u64_u32 v[9:10], null, v13, s17, v[14:15]
	;; [unrolled: 1-line block ×3, first 2 shown]
	v_and_b32_e32 v10, 0xff, v20
	v_wmma_i32_16x16x16_iu8 v[1:8], v[109:112], v[65:68], v[1:8] neg_lo:[1,1,0]
	v_mad_u64_u32 v[14:15], null, v25, s17, v[16:17]
	v_lshlrev_b16 v9, 8, v9
	v_mad_u64_u32 v[15:16], null, v22, s17, v[12:13]
	v_mad_u64_u32 v[21:22], null, v24, s17, v[11:12]
	v_and_b32_e32 v11, 0xff, v19
	v_lshlrev_b16 v12, 8, v14
	v_and_b32_e32 v13, 0xff, v13
	v_lshlrev_b16 v14, 8, v17
	v_lshlrev_b16 v15, 8, v15
	v_or_b32_e32 v9, v10, v9
	v_and_b32_e32 v16, 0xff, v21
	v_or_b32_e32 v10, v13, v12
	v_or_b32_e32 v11, v11, v14
	v_wmma_i32_16x16x16_iu8 v[1:8], v[105:108], v[61:64], v[1:8] neg_lo:[1,1,0]
	v_and_b32_e32 v9, 0xffff, v9
	v_or_b32_e32 v12, v16, v15
	v_lshlrev_b32_e32 v10, 16, v10
	v_and_b32_e32 v11, 0xffff, v11
	v_wmma_i32_16x16x16_iu8 v[1:8], v[93:96], v[53:56], v[1:8] neg_lo:[1,1,0]
	v_add_nc_u32_e32 v13, 32, v23
	v_lshlrev_b32_e32 v12, 16, v12
	v_or_b32_e32 v10, v9, v10
	s_delay_alu instid0(VALU_DEP_4) | instskip(NEXT) | instid1(VALU_DEP_3)
	v_wmma_i32_16x16x16_iu8 v[1:8], v[85:88], v[57:60], v[1:8] neg_lo:[1,1,0]
	v_or_b32_e32 v9, v11, v12
	buffer_store_b64 v[9:10], v13, s[12:15], 0 offen
	s_waitcnt lgkmcnt(0)
	s_waitcnt_vscnt null, 0x0
	s_barrier
	ds_store_2addr_b32 v153, v1, v2 offset1:32
	ds_store_2addr_b32 v153, v3, v4 offset0:64 offset1:96
	ds_store_2addr_b32 v153, v5, v6 offset0:128 offset1:160
	;; [unrolled: 1-line block ×3, first 2 shown]
	s_waitcnt lgkmcnt(0)
	s_barrier
	buffer_load_b64 v[9:10], v32, s[20:23], 0 offen
	ds_load_b128 v[1:4], v0
	ds_load_b128 v[5:8], v0 offset:16
	s_waitcnt lgkmcnt(1)
	v_mul_lo_u32 v0, v1, s16
	v_mul_lo_u32 v1, v2, s16
	;; [unrolled: 1-line block ×4, first 2 shown]
	s_waitcnt lgkmcnt(0)
	v_mul_lo_u32 v4, v5, s16
	v_mul_lo_u32 v5, v6, s16
	;; [unrolled: 1-line block ×4, first 2 shown]
	s_waitcnt vmcnt(0)
	v_mad_u64_u32 v[11:12], null, v9, s17, v[0:1]
	v_lshrrev_b32_e32 v0, 8, v9
	v_lshrrev_b32_e32 v14, 16, v9
	;; [unrolled: 1-line block ×3, first 2 shown]
	v_mad_u64_u32 v[8:9], null, v10, s17, v[4:5]
	v_lshrrev_b32_e32 v4, 8, v10
	v_lshrrev_b32_e32 v13, 16, v10
	;; [unrolled: 1-line block ×3, first 2 shown]
	v_mad_u64_u32 v[9:10], null, v0, s17, v[1:2]
	s_delay_alu instid0(VALU_DEP_4) | instskip(NEXT) | instid1(VALU_DEP_4)
	v_mad_u64_u32 v[0:1], null, v4, s17, v[5:6]
	v_mad_u64_u32 v[4:5], null, v13, s17, v[6:7]
	s_delay_alu instid0(VALU_DEP_4) | instskip(SKIP_1) | instid1(VALU_DEP_4)
	v_mad_u64_u32 v[5:6], null, v15, s17, v[7:8]
	v_and_b32_e32 v1, 0xff, v8
	v_lshlrev_b16 v0, 8, v0
	s_delay_alu instid0(VALU_DEP_4)
	v_mad_u64_u32 v[6:7], null, v12, s17, v[3:4]
	v_mad_u64_u32 v[12:13], null, v14, s17, v[2:3]
	v_and_b32_e32 v2, 0xff, v11
	v_lshlrev_b16 v3, 8, v5
	v_and_b32_e32 v4, 0xff, v4
	v_lshlrev_b16 v5, 8, v9
	v_lshlrev_b16 v6, 8, v6
	v_or_b32_e32 v0, v1, v0
	v_and_b32_e32 v7, 0xff, v12
	v_or_b32_e32 v1, v4, v3
	v_or_b32_e32 v2, v2, v5
	s_delay_alu instid0(VALU_DEP_4) | instskip(NEXT) | instid1(VALU_DEP_4)
	v_and_b32_e32 v0, 0xffff, v0
	v_or_b32_e32 v3, v7, v6
	s_delay_alu instid0(VALU_DEP_4) | instskip(NEXT) | instid1(VALU_DEP_4)
	v_lshlrev_b32_e32 v1, 16, v1
	v_and_b32_e32 v2, 0xffff, v2
	s_delay_alu instid0(VALU_DEP_3) | instskip(NEXT) | instid1(VALU_DEP_3)
	v_lshlrev_b32_e32 v3, 16, v3
	v_or_b32_e32 v1, v0, v1
	s_delay_alu instid0(VALU_DEP_2)
	v_or_b32_e32 v0, v2, v3
	buffer_store_b64 v[0:1], v23, s[12:15], 0 offen
	s_nop 0
	s_sendmsg sendmsg(MSG_DEALLOC_VGPRS)
	s_endpgm
	.section	.rodata,"a",@progbits
	.p2align	6, 0x0
	.amdhsa_kernel _ZN2ck36kernel_gemm_mupltipe_d_wmma_cshuffleINS_26GridwiseGemmMultipleD_WmmaIaaiiNS_5TupleIJaEEEaNS_16TensorDescriptorINS2_IJNS_5EmbedINS2_IJiiEEENS2_IJiNS_17integral_constantIiLi1EEEEEELb0EEENS_11PassThroughIiEESC_NS_7UnMergeINS2_IJiNS7_IiLi8EEEEEELb0EEESC_EEENS2_IJNS_8SequenceIJLi0EEEENSI_IJLi1EEEENSI_IJLi2EEEENSI_IJLi4EEEENSI_IJLi3EEEEEEENS2_IJNSI_IJLi1ELi2EEEESN_SM_NSI_IJLi5ELi6EEEENSI_IJLi7EEEEEEENSI_IJLi5ELi7ELi6EEEElEESU_NS2_IJNS4_INS2_IJSA_SC_SC_EEENS2_IJSJ_SK_SL_EEENS2_IJSP_SN_SM_EEENSI_IJLi3ELi4EEEElEEEEESZ_NS_16tensor_operation12element_wise11PassThroughES13_12AlphaBetaAddLNS_25InMemoryDataOperationEnumE0ELi128ELi64ELi64ELi16ELi16ELi8ELi4ELi2ELi128ENSI_IJLi4ELi32ELi1EEEENSI_IJLi1ELi0ELi2EEEES17_Li2ELi8ELi8ELb0ELb1ELb1ES16_S17_S17_Li2ELi8ELi8ELb0ELb1ELb1ELi1ELi1ENSI_IJLi1ELi32ELi1ELi4EEEELi8ELi2ELNS_13LoopSchedulerE0ELNS_15PipelineVersionE0EEEaaNS2_IJPKaEEEaSU_SU_NS2_IJNS4_INS2_IJSA_SC_SC_NSD_INS2_IJiNS7_IiLi128EEEEEELb0EEENSD_INS2_IJiNS7_IiLi64EEEEEELb0EEEEEENS2_IJSJ_SK_SL_SN_SM_EEENS2_IJSP_SN_SM_SQ_NSI_IJLi7ELi8EEEEEEENSI_IJLi5ELi6ELi7ELi8EEEElEEEEES1Q_S13_S13_S14_NS_31BlockToCTileMap_M00_N0_M01AdaptILi128ELi64ESZ_iEELb0EEEvPKT0_PKT1_T2_PT3_T4_T5_T6_T7_T8_T9_T10_T11_
		.amdhsa_group_segment_fixed_size 12400
		.amdhsa_private_segment_fixed_size 36
		.amdhsa_kernarg_size 296
		.amdhsa_user_sgpr_count 15
		.amdhsa_user_sgpr_dispatch_ptr 0
		.amdhsa_user_sgpr_queue_ptr 0
		.amdhsa_user_sgpr_kernarg_segment_ptr 1
		.amdhsa_user_sgpr_dispatch_id 0
		.amdhsa_user_sgpr_private_segment_size 0
		.amdhsa_wavefront_size32 1
		.amdhsa_uses_dynamic_stack 0
		.amdhsa_enable_private_segment 1
		.amdhsa_system_sgpr_workgroup_id_x 1
		.amdhsa_system_sgpr_workgroup_id_y 0
		.amdhsa_system_sgpr_workgroup_id_z 0
		.amdhsa_system_sgpr_workgroup_info 0
		.amdhsa_system_vgpr_workitem_id 0
		.amdhsa_next_free_vgpr 256
		.amdhsa_next_free_sgpr 31
		.amdhsa_reserve_vcc 0
		.amdhsa_float_round_mode_32 0
		.amdhsa_float_round_mode_16_64 0
		.amdhsa_float_denorm_mode_32 3
		.amdhsa_float_denorm_mode_16_64 3
		.amdhsa_dx10_clamp 1
		.amdhsa_ieee_mode 1
		.amdhsa_fp16_overflow 0
		.amdhsa_workgroup_processor_mode 1
		.amdhsa_memory_ordered 1
		.amdhsa_forward_progress 0
		.amdhsa_shared_vgpr_count 0
		.amdhsa_exception_fp_ieee_invalid_op 0
		.amdhsa_exception_fp_denorm_src 0
		.amdhsa_exception_fp_ieee_div_zero 0
		.amdhsa_exception_fp_ieee_overflow 0
		.amdhsa_exception_fp_ieee_underflow 0
		.amdhsa_exception_fp_ieee_inexact 0
		.amdhsa_exception_int_div_zero 0
	.end_amdhsa_kernel
	.section	.text._ZN2ck36kernel_gemm_mupltipe_d_wmma_cshuffleINS_26GridwiseGemmMultipleD_WmmaIaaiiNS_5TupleIJaEEEaNS_16TensorDescriptorINS2_IJNS_5EmbedINS2_IJiiEEENS2_IJiNS_17integral_constantIiLi1EEEEEELb0EEENS_11PassThroughIiEESC_NS_7UnMergeINS2_IJiNS7_IiLi8EEEEEELb0EEESC_EEENS2_IJNS_8SequenceIJLi0EEEENSI_IJLi1EEEENSI_IJLi2EEEENSI_IJLi4EEEENSI_IJLi3EEEEEEENS2_IJNSI_IJLi1ELi2EEEESN_SM_NSI_IJLi5ELi6EEEENSI_IJLi7EEEEEEENSI_IJLi5ELi7ELi6EEEElEESU_NS2_IJNS4_INS2_IJSA_SC_SC_EEENS2_IJSJ_SK_SL_EEENS2_IJSP_SN_SM_EEENSI_IJLi3ELi4EEEElEEEEESZ_NS_16tensor_operation12element_wise11PassThroughES13_12AlphaBetaAddLNS_25InMemoryDataOperationEnumE0ELi128ELi64ELi64ELi16ELi16ELi8ELi4ELi2ELi128ENSI_IJLi4ELi32ELi1EEEENSI_IJLi1ELi0ELi2EEEES17_Li2ELi8ELi8ELb0ELb1ELb1ES16_S17_S17_Li2ELi8ELi8ELb0ELb1ELb1ELi1ELi1ENSI_IJLi1ELi32ELi1ELi4EEEELi8ELi2ELNS_13LoopSchedulerE0ELNS_15PipelineVersionE0EEEaaNS2_IJPKaEEEaSU_SU_NS2_IJNS4_INS2_IJSA_SC_SC_NSD_INS2_IJiNS7_IiLi128EEEEEELb0EEENSD_INS2_IJiNS7_IiLi64EEEEEELb0EEEEEENS2_IJSJ_SK_SL_SN_SM_EEENS2_IJSP_SN_SM_SQ_NSI_IJLi7ELi8EEEEEEENSI_IJLi5ELi6ELi7ELi8EEEElEEEEES1Q_S13_S13_S14_NS_31BlockToCTileMap_M00_N0_M01AdaptILi128ELi64ESZ_iEELb0EEEvPKT0_PKT1_T2_PT3_T4_T5_T6_T7_T8_T9_T10_T11_,"axG",@progbits,_ZN2ck36kernel_gemm_mupltipe_d_wmma_cshuffleINS_26GridwiseGemmMultipleD_WmmaIaaiiNS_5TupleIJaEEEaNS_16TensorDescriptorINS2_IJNS_5EmbedINS2_IJiiEEENS2_IJiNS_17integral_constantIiLi1EEEEEELb0EEENS_11PassThroughIiEESC_NS_7UnMergeINS2_IJiNS7_IiLi8EEEEEELb0EEESC_EEENS2_IJNS_8SequenceIJLi0EEEENSI_IJLi1EEEENSI_IJLi2EEEENSI_IJLi4EEEENSI_IJLi3EEEEEEENS2_IJNSI_IJLi1ELi2EEEESN_SM_NSI_IJLi5ELi6EEEENSI_IJLi7EEEEEEENSI_IJLi5ELi7ELi6EEEElEESU_NS2_IJNS4_INS2_IJSA_SC_SC_EEENS2_IJSJ_SK_SL_EEENS2_IJSP_SN_SM_EEENSI_IJLi3ELi4EEEElEEEEESZ_NS_16tensor_operation12element_wise11PassThroughES13_12AlphaBetaAddLNS_25InMemoryDataOperationEnumE0ELi128ELi64ELi64ELi16ELi16ELi8ELi4ELi2ELi128ENSI_IJLi4ELi32ELi1EEEENSI_IJLi1ELi0ELi2EEEES17_Li2ELi8ELi8ELb0ELb1ELb1ES16_S17_S17_Li2ELi8ELi8ELb0ELb1ELb1ELi1ELi1ENSI_IJLi1ELi32ELi1ELi4EEEELi8ELi2ELNS_13LoopSchedulerE0ELNS_15PipelineVersionE0EEEaaNS2_IJPKaEEEaSU_SU_NS2_IJNS4_INS2_IJSA_SC_SC_NSD_INS2_IJiNS7_IiLi128EEEEEELb0EEENSD_INS2_IJiNS7_IiLi64EEEEEELb0EEEEEENS2_IJSJ_SK_SL_SN_SM_EEENS2_IJSP_SN_SM_SQ_NSI_IJLi7ELi8EEEEEEENSI_IJLi5ELi6ELi7ELi8EEEElEEEEES1Q_S13_S13_S14_NS_31BlockToCTileMap_M00_N0_M01AdaptILi128ELi64ESZ_iEELb0EEEvPKT0_PKT1_T2_PT3_T4_T5_T6_T7_T8_T9_T10_T11_,comdat
.Lfunc_end2:
	.size	_ZN2ck36kernel_gemm_mupltipe_d_wmma_cshuffleINS_26GridwiseGemmMultipleD_WmmaIaaiiNS_5TupleIJaEEEaNS_16TensorDescriptorINS2_IJNS_5EmbedINS2_IJiiEEENS2_IJiNS_17integral_constantIiLi1EEEEEELb0EEENS_11PassThroughIiEESC_NS_7UnMergeINS2_IJiNS7_IiLi8EEEEEELb0EEESC_EEENS2_IJNS_8SequenceIJLi0EEEENSI_IJLi1EEEENSI_IJLi2EEEENSI_IJLi4EEEENSI_IJLi3EEEEEEENS2_IJNSI_IJLi1ELi2EEEESN_SM_NSI_IJLi5ELi6EEEENSI_IJLi7EEEEEEENSI_IJLi5ELi7ELi6EEEElEESU_NS2_IJNS4_INS2_IJSA_SC_SC_EEENS2_IJSJ_SK_SL_EEENS2_IJSP_SN_SM_EEENSI_IJLi3ELi4EEEElEEEEESZ_NS_16tensor_operation12element_wise11PassThroughES13_12AlphaBetaAddLNS_25InMemoryDataOperationEnumE0ELi128ELi64ELi64ELi16ELi16ELi8ELi4ELi2ELi128ENSI_IJLi4ELi32ELi1EEEENSI_IJLi1ELi0ELi2EEEES17_Li2ELi8ELi8ELb0ELb1ELb1ES16_S17_S17_Li2ELi8ELi8ELb0ELb1ELb1ELi1ELi1ENSI_IJLi1ELi32ELi1ELi4EEEELi8ELi2ELNS_13LoopSchedulerE0ELNS_15PipelineVersionE0EEEaaNS2_IJPKaEEEaSU_SU_NS2_IJNS4_INS2_IJSA_SC_SC_NSD_INS2_IJiNS7_IiLi128EEEEEELb0EEENSD_INS2_IJiNS7_IiLi64EEEEEELb0EEEEEENS2_IJSJ_SK_SL_SN_SM_EEENS2_IJSP_SN_SM_SQ_NSI_IJLi7ELi8EEEEEEENSI_IJLi5ELi6ELi7ELi8EEEElEEEEES1Q_S13_S13_S14_NS_31BlockToCTileMap_M00_N0_M01AdaptILi128ELi64ESZ_iEELb0EEEvPKT0_PKT1_T2_PT3_T4_T5_T6_T7_T8_T9_T10_T11_, .Lfunc_end2-_ZN2ck36kernel_gemm_mupltipe_d_wmma_cshuffleINS_26GridwiseGemmMultipleD_WmmaIaaiiNS_5TupleIJaEEEaNS_16TensorDescriptorINS2_IJNS_5EmbedINS2_IJiiEEENS2_IJiNS_17integral_constantIiLi1EEEEEELb0EEENS_11PassThroughIiEESC_NS_7UnMergeINS2_IJiNS7_IiLi8EEEEEELb0EEESC_EEENS2_IJNS_8SequenceIJLi0EEEENSI_IJLi1EEEENSI_IJLi2EEEENSI_IJLi4EEEENSI_IJLi3EEEEEEENS2_IJNSI_IJLi1ELi2EEEESN_SM_NSI_IJLi5ELi6EEEENSI_IJLi7EEEEEEENSI_IJLi5ELi7ELi6EEEElEESU_NS2_IJNS4_INS2_IJSA_SC_SC_EEENS2_IJSJ_SK_SL_EEENS2_IJSP_SN_SM_EEENSI_IJLi3ELi4EEEElEEEEESZ_NS_16tensor_operation12element_wise11PassThroughES13_12AlphaBetaAddLNS_25InMemoryDataOperationEnumE0ELi128ELi64ELi64ELi16ELi16ELi8ELi4ELi2ELi128ENSI_IJLi4ELi32ELi1EEEENSI_IJLi1ELi0ELi2EEEES17_Li2ELi8ELi8ELb0ELb1ELb1ES16_S17_S17_Li2ELi8ELi8ELb0ELb1ELb1ELi1ELi1ENSI_IJLi1ELi32ELi1ELi4EEEELi8ELi2ELNS_13LoopSchedulerE0ELNS_15PipelineVersionE0EEEaaNS2_IJPKaEEEaSU_SU_NS2_IJNS4_INS2_IJSA_SC_SC_NSD_INS2_IJiNS7_IiLi128EEEEEELb0EEENSD_INS2_IJiNS7_IiLi64EEEEEELb0EEEEEENS2_IJSJ_SK_SL_SN_SM_EEENS2_IJSP_SN_SM_SQ_NSI_IJLi7ELi8EEEEEEENSI_IJLi5ELi6ELi7ELi8EEEElEEEEES1Q_S13_S13_S14_NS_31BlockToCTileMap_M00_N0_M01AdaptILi128ELi64ESZ_iEELb0EEEvPKT0_PKT1_T2_PT3_T4_T5_T6_T7_T8_T9_T10_T11_
                                        ; -- End function
	.section	.AMDGPU.csdata,"",@progbits
; Kernel info:
; codeLenInByte = 6312
; NumSgprs: 31
; NumVgprs: 256
; ScratchSize: 36
; MemoryBound: 0
; FloatMode: 240
; IeeeMode: 1
; LDSByteSize: 12400 bytes/workgroup (compile time only)
; SGPRBlocks: 3
; VGPRBlocks: 31
; NumSGPRsForWavesPerEU: 31
; NumVGPRsForWavesPerEU: 256
; Occupancy: 5
; WaveLimiterHint : 0
; COMPUTE_PGM_RSRC2:SCRATCH_EN: 1
; COMPUTE_PGM_RSRC2:USER_SGPR: 15
; COMPUTE_PGM_RSRC2:TRAP_HANDLER: 0
; COMPUTE_PGM_RSRC2:TGID_X_EN: 1
; COMPUTE_PGM_RSRC2:TGID_Y_EN: 0
; COMPUTE_PGM_RSRC2:TGID_Z_EN: 0
; COMPUTE_PGM_RSRC2:TIDIG_COMP_CNT: 0
	.text
	.p2alignl 7, 3214868480
	.fill 96, 4, 3214868480
	.type	__hip_cuid_35628c7b60a7e378,@object ; @__hip_cuid_35628c7b60a7e378
	.section	.bss,"aw",@nobits
	.globl	__hip_cuid_35628c7b60a7e378
__hip_cuid_35628c7b60a7e378:
	.byte	0                               ; 0x0
	.size	__hip_cuid_35628c7b60a7e378, 1

	.ident	"AMD clang version 19.0.0git (https://github.com/RadeonOpenCompute/llvm-project roc-6.4.0 25133 c7fe45cf4b819c5991fe208aaa96edf142730f1d)"
	.section	".note.GNU-stack","",@progbits
	.addrsig
	.addrsig_sym __hip_cuid_35628c7b60a7e378
	.amdgpu_metadata
---
amdhsa.kernels:
  - .args:           []
    .group_segment_fixed_size: 0
    .kernarg_segment_align: 4
    .kernarg_segment_size: 0
    .language:       OpenCL C
    .language_version:
      - 2
      - 0
    .max_flat_workgroup_size: 1024
    .name:           _ZN2ckL12flush_icacheEv
    .private_segment_fixed_size: 0
    .sgpr_count:     0
    .sgpr_spill_count: 0
    .symbol:         _ZN2ckL12flush_icacheEv.kd
    .uniform_work_group_size: 1
    .uses_dynamic_stack: false
    .vgpr_count:     0
    .vgpr_spill_count: 0
    .wavefront_size: 32
    .workgroup_processor_mode: 1
  - .args:
      - .address_space:  global
        .offset:         0
        .size:           8
        .value_kind:     global_buffer
      - .address_space:  global
        .offset:         8
        .size:           8
        .value_kind:     global_buffer
      - .address_space:  global
        .offset:         16
        .size:           8
        .value_kind:     global_buffer
      - .address_space:  global
        .offset:         24
        .size:           8
        .value_kind:     global_buffer
      - .offset:         32
        .size:           56
        .value_kind:     by_value
      - .offset:         88
        .size:           56
        .value_kind:     by_value
      - .offset:         144
        .size:           64
        .value_kind:     by_value
      - .offset:         208
        .size:           64
        .value_kind:     by_value
      - .offset:         272
        .size:           1
        .value_kind:     by_value
      - .offset:         273
        .size:           1
        .value_kind:     by_value
      - .offset:         276
        .size:           8
        .value_kind:     by_value
      - .offset:         284
        .size:           12
        .value_kind:     by_value
    .group_segment_fixed_size: 12400
    .kernarg_segment_align: 8
    .kernarg_segment_size: 296
    .language:       OpenCL C
    .language_version:
      - 2
      - 0
    .max_flat_workgroup_size: 256
    .name:           _ZN2ck36kernel_gemm_mupltipe_d_wmma_cshuffleINS_26GridwiseGemmMultipleD_WmmaIaaiiNS_5TupleIJaEEEaNS_16TensorDescriptorINS2_IJNS_5EmbedINS2_IJiiEEENS2_IJiNS_17integral_constantIiLi1EEEEEELb0EEENS_11PassThroughIiEESC_NS_7UnMergeINS2_IJiNS7_IiLi8EEEEEELb0EEESC_EEENS2_IJNS_8SequenceIJLi0EEEENSI_IJLi1EEEENSI_IJLi2EEEENSI_IJLi4EEEENSI_IJLi3EEEEEEENS2_IJNSI_IJLi1ELi2EEEESN_SM_NSI_IJLi5ELi6EEEENSI_IJLi7EEEEEEENSI_IJLi5ELi7ELi6EEEElEESU_NS2_IJNS4_INS2_IJSA_SC_SC_EEENS2_IJSJ_SK_SL_EEENS2_IJSP_SN_SM_EEENSI_IJLi3ELi4EEEElEEEEESZ_NS_16tensor_operation12element_wise11PassThroughES13_12AlphaBetaAddLNS_25InMemoryDataOperationEnumE0ELi128ELi64ELi64ELi16ELi16ELi8ELi4ELi2ELi128ENSI_IJLi4ELi32ELi1EEEENSI_IJLi1ELi0ELi2EEEES17_Li2ELi8ELi8ELb0ELb1ELb1ES16_S17_S17_Li2ELi8ELi8ELb0ELb1ELb1ELi1ELi1ENSI_IJLi1ELi32ELi1ELi4EEEELi8ELi2ELNS_13LoopSchedulerE0ELNS_15PipelineVersionE0EEEaaNS2_IJPKaEEEaSU_SU_NS2_IJNS4_INS2_IJSA_SC_SC_NSD_INS2_IJiNS7_IiLi128EEEEEELb0EEENSD_INS2_IJiNS7_IiLi64EEEEEELb0EEEEEENS2_IJSJ_SK_SL_SN_SM_EEENS2_IJSP_SN_SM_SQ_NSI_IJLi7ELi8EEEEEEENSI_IJLi5ELi6ELi7ELi8EEEElEEEEES1Q_S13_S13_S14_NS_31BlockToCTileMap_M00_N0_M01AdaptILi128ELi64ESZ_iEELb1EEEvPKT0_PKT1_T2_PT3_T4_T5_T6_T7_T8_T9_T10_T11_
    .private_segment_fixed_size: 104
    .sgpr_count:     28
    .sgpr_spill_count: 0
    .symbol:         _ZN2ck36kernel_gemm_mupltipe_d_wmma_cshuffleINS_26GridwiseGemmMultipleD_WmmaIaaiiNS_5TupleIJaEEEaNS_16TensorDescriptorINS2_IJNS_5EmbedINS2_IJiiEEENS2_IJiNS_17integral_constantIiLi1EEEEEELb0EEENS_11PassThroughIiEESC_NS_7UnMergeINS2_IJiNS7_IiLi8EEEEEELb0EEESC_EEENS2_IJNS_8SequenceIJLi0EEEENSI_IJLi1EEEENSI_IJLi2EEEENSI_IJLi4EEEENSI_IJLi3EEEEEEENS2_IJNSI_IJLi1ELi2EEEESN_SM_NSI_IJLi5ELi6EEEENSI_IJLi7EEEEEEENSI_IJLi5ELi7ELi6EEEElEESU_NS2_IJNS4_INS2_IJSA_SC_SC_EEENS2_IJSJ_SK_SL_EEENS2_IJSP_SN_SM_EEENSI_IJLi3ELi4EEEElEEEEESZ_NS_16tensor_operation12element_wise11PassThroughES13_12AlphaBetaAddLNS_25InMemoryDataOperationEnumE0ELi128ELi64ELi64ELi16ELi16ELi8ELi4ELi2ELi128ENSI_IJLi4ELi32ELi1EEEENSI_IJLi1ELi0ELi2EEEES17_Li2ELi8ELi8ELb0ELb1ELb1ES16_S17_S17_Li2ELi8ELi8ELb0ELb1ELb1ELi1ELi1ENSI_IJLi1ELi32ELi1ELi4EEEELi8ELi2ELNS_13LoopSchedulerE0ELNS_15PipelineVersionE0EEEaaNS2_IJPKaEEEaSU_SU_NS2_IJNS4_INS2_IJSA_SC_SC_NSD_INS2_IJiNS7_IiLi128EEEEEELb0EEENSD_INS2_IJiNS7_IiLi64EEEEEELb0EEEEEENS2_IJSJ_SK_SL_SN_SM_EEENS2_IJSP_SN_SM_SQ_NSI_IJLi7ELi8EEEEEEENSI_IJLi5ELi6ELi7ELi8EEEElEEEEES1Q_S13_S13_S14_NS_31BlockToCTileMap_M00_N0_M01AdaptILi128ELi64ESZ_iEELb1EEEvPKT0_PKT1_T2_PT3_T4_T5_T6_T7_T8_T9_T10_T11_.kd
    .uniform_work_group_size: 1
    .uses_dynamic_stack: false
    .vgpr_count:     256
    .vgpr_spill_count: 25
    .wavefront_size: 32
    .workgroup_processor_mode: 1
  - .args:
      - .address_space:  global
        .offset:         0
        .size:           8
        .value_kind:     global_buffer
      - .address_space:  global
        .offset:         8
        .size:           8
        .value_kind:     global_buffer
      - .address_space:  global
        .offset:         16
        .size:           8
        .value_kind:     global_buffer
      - .address_space:  global
        .offset:         24
        .size:           8
        .value_kind:     global_buffer
      - .offset:         32
        .size:           56
        .value_kind:     by_value
      - .offset:         88
        .size:           56
        .value_kind:     by_value
      - .offset:         144
        .size:           64
        .value_kind:     by_value
      - .offset:         208
        .size:           64
        .value_kind:     by_value
      - .offset:         272
        .size:           1
        .value_kind:     by_value
      - .offset:         273
        .size:           1
        .value_kind:     by_value
      - .offset:         276
        .size:           8
        .value_kind:     by_value
      - .offset:         284
        .size:           12
        .value_kind:     by_value
    .group_segment_fixed_size: 12400
    .kernarg_segment_align: 8
    .kernarg_segment_size: 296
    .language:       OpenCL C
    .language_version:
      - 2
      - 0
    .max_flat_workgroup_size: 256
    .name:           _ZN2ck36kernel_gemm_mupltipe_d_wmma_cshuffleINS_26GridwiseGemmMultipleD_WmmaIaaiiNS_5TupleIJaEEEaNS_16TensorDescriptorINS2_IJNS_5EmbedINS2_IJiiEEENS2_IJiNS_17integral_constantIiLi1EEEEEELb0EEENS_11PassThroughIiEESC_NS_7UnMergeINS2_IJiNS7_IiLi8EEEEEELb0EEESC_EEENS2_IJNS_8SequenceIJLi0EEEENSI_IJLi1EEEENSI_IJLi2EEEENSI_IJLi4EEEENSI_IJLi3EEEEEEENS2_IJNSI_IJLi1ELi2EEEESN_SM_NSI_IJLi5ELi6EEEENSI_IJLi7EEEEEEENSI_IJLi5ELi7ELi6EEEElEESU_NS2_IJNS4_INS2_IJSA_SC_SC_EEENS2_IJSJ_SK_SL_EEENS2_IJSP_SN_SM_EEENSI_IJLi3ELi4EEEElEEEEESZ_NS_16tensor_operation12element_wise11PassThroughES13_12AlphaBetaAddLNS_25InMemoryDataOperationEnumE0ELi128ELi64ELi64ELi16ELi16ELi8ELi4ELi2ELi128ENSI_IJLi4ELi32ELi1EEEENSI_IJLi1ELi0ELi2EEEES17_Li2ELi8ELi8ELb0ELb1ELb1ES16_S17_S17_Li2ELi8ELi8ELb0ELb1ELb1ELi1ELi1ENSI_IJLi1ELi32ELi1ELi4EEEELi8ELi2ELNS_13LoopSchedulerE0ELNS_15PipelineVersionE0EEEaaNS2_IJPKaEEEaSU_SU_NS2_IJNS4_INS2_IJSA_SC_SC_NSD_INS2_IJiNS7_IiLi128EEEEEELb0EEENSD_INS2_IJiNS7_IiLi64EEEEEELb0EEEEEENS2_IJSJ_SK_SL_SN_SM_EEENS2_IJSP_SN_SM_SQ_NSI_IJLi7ELi8EEEEEEENSI_IJLi5ELi6ELi7ELi8EEEElEEEEES1Q_S13_S13_S14_NS_31BlockToCTileMap_M00_N0_M01AdaptILi128ELi64ESZ_iEELb0EEEvPKT0_PKT1_T2_PT3_T4_T5_T6_T7_T8_T9_T10_T11_
    .private_segment_fixed_size: 36
    .sgpr_count:     31
    .sgpr_spill_count: 0
    .symbol:         _ZN2ck36kernel_gemm_mupltipe_d_wmma_cshuffleINS_26GridwiseGemmMultipleD_WmmaIaaiiNS_5TupleIJaEEEaNS_16TensorDescriptorINS2_IJNS_5EmbedINS2_IJiiEEENS2_IJiNS_17integral_constantIiLi1EEEEEELb0EEENS_11PassThroughIiEESC_NS_7UnMergeINS2_IJiNS7_IiLi8EEEEEELb0EEESC_EEENS2_IJNS_8SequenceIJLi0EEEENSI_IJLi1EEEENSI_IJLi2EEEENSI_IJLi4EEEENSI_IJLi3EEEEEEENS2_IJNSI_IJLi1ELi2EEEESN_SM_NSI_IJLi5ELi6EEEENSI_IJLi7EEEEEEENSI_IJLi5ELi7ELi6EEEElEESU_NS2_IJNS4_INS2_IJSA_SC_SC_EEENS2_IJSJ_SK_SL_EEENS2_IJSP_SN_SM_EEENSI_IJLi3ELi4EEEElEEEEESZ_NS_16tensor_operation12element_wise11PassThroughES13_12AlphaBetaAddLNS_25InMemoryDataOperationEnumE0ELi128ELi64ELi64ELi16ELi16ELi8ELi4ELi2ELi128ENSI_IJLi4ELi32ELi1EEEENSI_IJLi1ELi0ELi2EEEES17_Li2ELi8ELi8ELb0ELb1ELb1ES16_S17_S17_Li2ELi8ELi8ELb0ELb1ELb1ELi1ELi1ENSI_IJLi1ELi32ELi1ELi4EEEELi8ELi2ELNS_13LoopSchedulerE0ELNS_15PipelineVersionE0EEEaaNS2_IJPKaEEEaSU_SU_NS2_IJNS4_INS2_IJSA_SC_SC_NSD_INS2_IJiNS7_IiLi128EEEEEELb0EEENSD_INS2_IJiNS7_IiLi64EEEEEELb0EEEEEENS2_IJSJ_SK_SL_SN_SM_EEENS2_IJSP_SN_SM_SQ_NSI_IJLi7ELi8EEEEEEENSI_IJLi5ELi6ELi7ELi8EEEElEEEEES1Q_S13_S13_S14_NS_31BlockToCTileMap_M00_N0_M01AdaptILi128ELi64ESZ_iEELb0EEEvPKT0_PKT1_T2_PT3_T4_T5_T6_T7_T8_T9_T10_T11_.kd
    .uniform_work_group_size: 1
    .uses_dynamic_stack: false
    .vgpr_count:     256
    .vgpr_spill_count: 8
    .wavefront_size: 32
    .workgroup_processor_mode: 1
amdhsa.target:   amdgcn-amd-amdhsa--gfx1100
amdhsa.version:
  - 1
  - 2
...

	.end_amdgpu_metadata
